;; amdgpu-corpus repo=ROCm/rocFFT kind=compiled arch=gfx906 opt=O3
	.text
	.amdgcn_target "amdgcn-amd-amdhsa--gfx906"
	.amdhsa_code_object_version 6
	.protected	fft_rtc_fwd_len3240_factors_3_3_10_6_6_wgs_108_tpt_108_halfLds_sp_ip_CI_sbrr_dirReg ; -- Begin function fft_rtc_fwd_len3240_factors_3_3_10_6_6_wgs_108_tpt_108_halfLds_sp_ip_CI_sbrr_dirReg
	.globl	fft_rtc_fwd_len3240_factors_3_3_10_6_6_wgs_108_tpt_108_halfLds_sp_ip_CI_sbrr_dirReg
	.p2align	8
	.type	fft_rtc_fwd_len3240_factors_3_3_10_6_6_wgs_108_tpt_108_halfLds_sp_ip_CI_sbrr_dirReg,@function
fft_rtc_fwd_len3240_factors_3_3_10_6_6_wgs_108_tpt_108_halfLds_sp_ip_CI_sbrr_dirReg: ; @fft_rtc_fwd_len3240_factors_3_3_10_6_6_wgs_108_tpt_108_halfLds_sp_ip_CI_sbrr_dirReg
; %bb.0:
	s_load_dwordx2 s[14:15], s[4:5], 0x18
	s_load_dwordx4 s[8:11], s[4:5], 0x0
	s_load_dwordx2 s[12:13], s[4:5], 0x50
	v_mul_u32_u24_e32 v1, 0x25f, v0
	v_add_u32_sdwa v5, s6, v1 dst_sel:DWORD dst_unused:UNUSED_PAD src0_sel:DWORD src1_sel:WORD_1
	s_waitcnt lgkmcnt(0)
	s_load_dwordx2 s[2:3], s[14:15], 0x0
	v_cmp_lt_u64_e64 s[0:1], s[10:11], 2
	v_mov_b32_e32 v3, 0
	v_mov_b32_e32 v1, 0
	;; [unrolled: 1-line block ×3, first 2 shown]
	s_and_b64 vcc, exec, s[0:1]
	v_mov_b32_e32 v2, 0
	s_cbranch_vccnz .LBB0_8
; %bb.1:
	s_load_dwordx2 s[0:1], s[4:5], 0x10
	s_add_u32 s6, s14, 8
	s_addc_u32 s7, s15, 0
	v_mov_b32_e32 v1, 0
	v_mov_b32_e32 v2, 0
	s_waitcnt lgkmcnt(0)
	s_add_u32 s16, s0, 8
	s_addc_u32 s17, s1, 0
	s_mov_b64 s[18:19], 1
.LBB0_2:                                ; =>This Inner Loop Header: Depth=1
	s_load_dwordx2 s[20:21], s[16:17], 0x0
                                        ; implicit-def: $vgpr7_vgpr8
	s_waitcnt lgkmcnt(0)
	v_or_b32_e32 v4, s21, v6
	v_cmp_ne_u64_e32 vcc, 0, v[3:4]
	s_and_saveexec_b64 s[0:1], vcc
	s_xor_b64 s[22:23], exec, s[0:1]
	s_cbranch_execz .LBB0_4
; %bb.3:                                ;   in Loop: Header=BB0_2 Depth=1
	v_cvt_f32_u32_e32 v4, s20
	v_cvt_f32_u32_e32 v7, s21
	s_sub_u32 s0, 0, s20
	s_subb_u32 s1, 0, s21
	v_mac_f32_e32 v4, 0x4f800000, v7
	v_rcp_f32_e32 v4, v4
	v_mul_f32_e32 v4, 0x5f7ffffc, v4
	v_mul_f32_e32 v7, 0x2f800000, v4
	v_trunc_f32_e32 v7, v7
	v_mac_f32_e32 v4, 0xcf800000, v7
	v_cvt_u32_f32_e32 v7, v7
	v_cvt_u32_f32_e32 v4, v4
	v_mul_lo_u32 v8, s0, v7
	v_mul_hi_u32 v9, s0, v4
	v_mul_lo_u32 v11, s1, v4
	v_mul_lo_u32 v10, s0, v4
	v_add_u32_e32 v8, v9, v8
	v_add_u32_e32 v8, v8, v11
	v_mul_hi_u32 v9, v4, v10
	v_mul_lo_u32 v11, v4, v8
	v_mul_hi_u32 v13, v4, v8
	v_mul_hi_u32 v12, v7, v10
	v_mul_lo_u32 v10, v7, v10
	v_mul_hi_u32 v14, v7, v8
	v_add_co_u32_e32 v9, vcc, v9, v11
	v_addc_co_u32_e32 v11, vcc, 0, v13, vcc
	v_mul_lo_u32 v8, v7, v8
	v_add_co_u32_e32 v9, vcc, v9, v10
	v_addc_co_u32_e32 v9, vcc, v11, v12, vcc
	v_addc_co_u32_e32 v10, vcc, 0, v14, vcc
	v_add_co_u32_e32 v8, vcc, v9, v8
	v_addc_co_u32_e32 v9, vcc, 0, v10, vcc
	v_add_co_u32_e32 v4, vcc, v4, v8
	v_addc_co_u32_e32 v7, vcc, v7, v9, vcc
	v_mul_lo_u32 v8, s0, v7
	v_mul_hi_u32 v9, s0, v4
	v_mul_lo_u32 v10, s1, v4
	v_mul_lo_u32 v11, s0, v4
	v_add_u32_e32 v8, v9, v8
	v_add_u32_e32 v8, v8, v10
	v_mul_lo_u32 v12, v4, v8
	v_mul_hi_u32 v13, v4, v11
	v_mul_hi_u32 v14, v4, v8
	;; [unrolled: 1-line block ×3, first 2 shown]
	v_mul_lo_u32 v11, v7, v11
	v_mul_hi_u32 v9, v7, v8
	v_add_co_u32_e32 v12, vcc, v13, v12
	v_addc_co_u32_e32 v13, vcc, 0, v14, vcc
	v_mul_lo_u32 v8, v7, v8
	v_add_co_u32_e32 v11, vcc, v12, v11
	v_addc_co_u32_e32 v10, vcc, v13, v10, vcc
	v_addc_co_u32_e32 v9, vcc, 0, v9, vcc
	v_add_co_u32_e32 v8, vcc, v10, v8
	v_addc_co_u32_e32 v9, vcc, 0, v9, vcc
	v_add_co_u32_e32 v4, vcc, v4, v8
	v_addc_co_u32_e32 v9, vcc, v7, v9, vcc
	v_mad_u64_u32 v[7:8], s[0:1], v5, v9, 0
	v_mul_hi_u32 v10, v5, v4
	v_add_co_u32_e32 v11, vcc, v10, v7
	v_addc_co_u32_e32 v12, vcc, 0, v8, vcc
	v_mad_u64_u32 v[7:8], s[0:1], v6, v4, 0
	v_mad_u64_u32 v[9:10], s[0:1], v6, v9, 0
	v_add_co_u32_e32 v4, vcc, v11, v7
	v_addc_co_u32_e32 v4, vcc, v12, v8, vcc
	v_addc_co_u32_e32 v7, vcc, 0, v10, vcc
	v_add_co_u32_e32 v4, vcc, v4, v9
	v_addc_co_u32_e32 v9, vcc, 0, v7, vcc
	v_mul_lo_u32 v10, s21, v4
	v_mul_lo_u32 v11, s20, v9
	v_mad_u64_u32 v[7:8], s[0:1], s20, v4, 0
	v_add3_u32 v8, v8, v11, v10
	v_sub_u32_e32 v10, v6, v8
	v_mov_b32_e32 v11, s21
	v_sub_co_u32_e32 v7, vcc, v5, v7
	v_subb_co_u32_e64 v10, s[0:1], v10, v11, vcc
	v_subrev_co_u32_e64 v11, s[0:1], s20, v7
	v_subbrev_co_u32_e64 v10, s[0:1], 0, v10, s[0:1]
	v_cmp_le_u32_e64 s[0:1], s21, v10
	v_cndmask_b32_e64 v12, 0, -1, s[0:1]
	v_cmp_le_u32_e64 s[0:1], s20, v11
	v_cndmask_b32_e64 v11, 0, -1, s[0:1]
	v_cmp_eq_u32_e64 s[0:1], s21, v10
	v_cndmask_b32_e64 v10, v12, v11, s[0:1]
	v_add_co_u32_e64 v11, s[0:1], 2, v4
	v_addc_co_u32_e64 v12, s[0:1], 0, v9, s[0:1]
	v_add_co_u32_e64 v13, s[0:1], 1, v4
	v_addc_co_u32_e64 v14, s[0:1], 0, v9, s[0:1]
	v_subb_co_u32_e32 v8, vcc, v6, v8, vcc
	v_cmp_ne_u32_e64 s[0:1], 0, v10
	v_cmp_le_u32_e32 vcc, s21, v8
	v_cndmask_b32_e64 v10, v14, v12, s[0:1]
	v_cndmask_b32_e64 v12, 0, -1, vcc
	v_cmp_le_u32_e32 vcc, s20, v7
	v_cndmask_b32_e64 v7, 0, -1, vcc
	v_cmp_eq_u32_e32 vcc, s21, v8
	v_cndmask_b32_e32 v7, v12, v7, vcc
	v_cmp_ne_u32_e32 vcc, 0, v7
	v_cndmask_b32_e64 v7, v13, v11, s[0:1]
	v_cndmask_b32_e32 v8, v9, v10, vcc
	v_cndmask_b32_e32 v7, v4, v7, vcc
.LBB0_4:                                ;   in Loop: Header=BB0_2 Depth=1
	s_andn2_saveexec_b64 s[0:1], s[22:23]
	s_cbranch_execz .LBB0_6
; %bb.5:                                ;   in Loop: Header=BB0_2 Depth=1
	v_cvt_f32_u32_e32 v4, s20
	s_sub_i32 s22, 0, s20
	v_rcp_iflag_f32_e32 v4, v4
	v_mul_f32_e32 v4, 0x4f7ffffe, v4
	v_cvt_u32_f32_e32 v4, v4
	v_mul_lo_u32 v7, s22, v4
	v_mul_hi_u32 v7, v4, v7
	v_add_u32_e32 v4, v4, v7
	v_mul_hi_u32 v4, v5, v4
	v_mul_lo_u32 v7, v4, s20
	v_add_u32_e32 v8, 1, v4
	v_sub_u32_e32 v7, v5, v7
	v_subrev_u32_e32 v9, s20, v7
	v_cmp_le_u32_e32 vcc, s20, v7
	v_cndmask_b32_e32 v7, v7, v9, vcc
	v_cndmask_b32_e32 v4, v4, v8, vcc
	v_add_u32_e32 v8, 1, v4
	v_cmp_le_u32_e32 vcc, s20, v7
	v_cndmask_b32_e32 v7, v4, v8, vcc
	v_mov_b32_e32 v8, v3
.LBB0_6:                                ;   in Loop: Header=BB0_2 Depth=1
	s_or_b64 exec, exec, s[0:1]
	v_mul_lo_u32 v4, v8, s20
	v_mul_lo_u32 v11, v7, s21
	v_mad_u64_u32 v[9:10], s[0:1], v7, s20, 0
	s_load_dwordx2 s[0:1], s[6:7], 0x0
	s_add_u32 s18, s18, 1
	v_add3_u32 v4, v10, v11, v4
	v_sub_co_u32_e32 v5, vcc, v5, v9
	v_subb_co_u32_e32 v4, vcc, v6, v4, vcc
	s_waitcnt lgkmcnt(0)
	v_mul_lo_u32 v4, s0, v4
	v_mul_lo_u32 v6, s1, v5
	v_mad_u64_u32 v[1:2], s[0:1], s0, v5, v[1:2]
	s_addc_u32 s19, s19, 0
	s_add_u32 s6, s6, 8
	v_add3_u32 v2, v6, v2, v4
	v_mov_b32_e32 v4, s10
	v_mov_b32_e32 v5, s11
	s_addc_u32 s7, s7, 0
	v_cmp_ge_u64_e32 vcc, s[18:19], v[4:5]
	s_add_u32 s16, s16, 8
	s_addc_u32 s17, s17, 0
	s_cbranch_vccnz .LBB0_9
; %bb.7:                                ;   in Loop: Header=BB0_2 Depth=1
	v_mov_b32_e32 v5, v7
	v_mov_b32_e32 v6, v8
	s_branch .LBB0_2
.LBB0_8:
	v_mov_b32_e32 v8, v6
	v_mov_b32_e32 v7, v5
.LBB0_9:
	s_lshl_b64 s[0:1], s[10:11], 3
	s_add_u32 s0, s14, s0
	s_addc_u32 s1, s15, s1
	s_load_dwordx2 s[6:7], s[0:1], 0x0
	s_load_dwordx2 s[10:11], s[4:5], 0x20
                                        ; implicit-def: $vgpr63
                                        ; implicit-def: $vgpr64
                                        ; implicit-def: $vgpr65
                                        ; implicit-def: $vgpr66
                                        ; implicit-def: $vgpr87
                                        ; implicit-def: $vgpr88
                                        ; implicit-def: $vgpr89
                                        ; implicit-def: $vgpr90
                                        ; implicit-def: $vgpr91
	s_waitcnt lgkmcnt(0)
	v_mad_u64_u32 v[1:2], s[0:1], s6, v7, v[1:2]
	s_mov_b32 s0, 0x25ed098
	v_mul_lo_u32 v3, s6, v8
	v_mul_lo_u32 v4, s7, v7
	v_mul_hi_u32 v5, v0, s0
	v_cmp_gt_u64_e32 vcc, s[10:11], v[7:8]
	v_cmp_le_u64_e64 s[0:1], s[10:11], v[7:8]
	v_add3_u32 v2, v4, v2, v3
	v_mul_u32_u24_e32 v3, 0x6c, v5
	v_sub_u32_e32 v62, v0, v3
	s_and_saveexec_b64 s[4:5], s[0:1]
	s_xor_b64 s[0:1], exec, s[4:5]
; %bb.10:
	v_add_u32_e32 v63, 0x6c, v62
	v_add_u32_e32 v64, 0xd8, v62
	v_add_u32_e32 v65, 0x144, v62
	v_add_u32_e32 v66, 0x1b0, v62
	v_add_u32_e32 v87, 0x21c, v62
	v_add_u32_e32 v88, 0x288, v62
	v_add_u32_e32 v89, 0x2f4, v62
	v_add_u32_e32 v90, 0x360, v62
	v_add_u32_e32 v91, 0x3cc, v62
; %bb.11:
	s_or_saveexec_b64 s[4:5], s[0:1]
	v_lshlrev_b64 v[36:37], 3, v[1:2]
                                        ; implicit-def: $vgpr5
                                        ; implicit-def: $vgpr3
                                        ; implicit-def: $vgpr1
                                        ; implicit-def: $vgpr9
                                        ; implicit-def: $vgpr11
                                        ; implicit-def: $vgpr7
                                        ; implicit-def: $vgpr15
                                        ; implicit-def: $vgpr19
                                        ; implicit-def: $vgpr13
                                        ; implicit-def: $vgpr35
                                        ; implicit-def: $vgpr41
                                        ; implicit-def: $vgpr21
                                        ; implicit-def: $vgpr43
                                        ; implicit-def: $vgpr45
                                        ; implicit-def: $vgpr25
                                        ; implicit-def: $vgpr27
                                        ; implicit-def: $vgpr29
                                        ; implicit-def: $vgpr17
                                        ; implicit-def: $vgpr31
                                        ; implicit-def: $vgpr33
                                        ; implicit-def: $vgpr23
                                        ; implicit-def: $vgpr47
                                        ; implicit-def: $vgpr49
                                        ; implicit-def: $vgpr39
                                        ; implicit-def: $vgpr53
                                        ; implicit-def: $vgpr55
                                        ; implicit-def: $vgpr51
                                        ; implicit-def: $vgpr59
                                        ; implicit-def: $vgpr61
                                        ; implicit-def: $vgpr57
	s_xor_b64 exec, exec, s[4:5]
	s_cbranch_execz .LBB0_13
; %bb.12:
	v_mad_u64_u32 v[0:1], s[0:1], s2, v62, 0
	v_add_u32_e32 v6, 0x438, v62
	v_mad_u64_u32 v[4:5], s[0:1], s2, v6, 0
	v_mad_u64_u32 v[1:2], s[0:1], s3, v62, v[1:2]
	v_mov_b32_e32 v3, s13
	v_add_co_u32_e64 v2, s[0:1], s12, v36
	v_addc_co_u32_e64 v3, s[0:1], v3, v37, s[0:1]
	v_mad_u64_u32 v[5:6], s[0:1], s3, v6, v[5:6]
	v_add_u32_e32 v8, 0x870, v62
	v_mad_u64_u32 v[6:7], s[0:1], s2, v8, 0
	v_lshlrev_b64 v[0:1], 3, v[0:1]
	v_add_u32_e32 v63, 0x6c, v62
	v_add_co_u32_e64 v0, s[0:1], v2, v0
	v_addc_co_u32_e64 v1, s[0:1], v3, v1, s[0:1]
	v_mad_u64_u32 v[7:8], s[0:1], s3, v8, v[7:8]
	v_mad_u64_u32 v[8:9], s[0:1], s2, v63, 0
	v_lshlrev_b64 v[4:5], 3, v[4:5]
	v_add_u32_e32 v12, 0x4a4, v62
	v_add_co_u32_e64 v4, s[0:1], v2, v4
	v_addc_co_u32_e64 v5, s[0:1], v3, v5, s[0:1]
	v_mad_u64_u32 v[9:10], s[0:1], s3, v63, v[9:10]
	;; [unrolled: 6-line block ×7, first 2 shown]
	v_mad_u64_u32 v[20:21], s[0:1], s2, v65, 0
	v_lshlrev_b64 v[16:17], 3, v[16:17]
	v_add_u32_e32 v66, 0x1b0, v62
	v_add_co_u32_e64 v24, s[0:1], v2, v16
	v_addc_co_u32_e64 v25, s[0:1], v3, v17, s[0:1]
	v_lshlrev_b64 v[16:17], 3, v[18:19]
	v_mov_b32_e32 v18, v21
	v_mad_u64_u32 v[18:19], s[0:1], s3, v65, v[18:19]
	v_add_u32_e32 v19, 0x57c, v62
	v_mad_u64_u32 v[22:23], s[0:1], s2, v19, 0
	v_add_co_u32_e64 v34, s[0:1], v2, v16
	v_mov_b32_e32 v21, v18
	v_mov_b32_e32 v18, v23
	v_addc_co_u32_e64 v35, s[0:1], v3, v17, s[0:1]
	v_lshlrev_b64 v[16:17], 3, v[20:21]
	v_mad_u64_u32 v[18:19], s[0:1], s3, v19, v[18:19]
	v_add_u32_e32 v21, 0x9b4, v62
	v_mad_u64_u32 v[19:20], s[0:1], s2, v21, 0
	v_add_co_u32_e64 v40, s[0:1], v2, v16
	v_mov_b32_e32 v23, v18
	v_mov_b32_e32 v18, v20
	v_addc_co_u32_e64 v41, s[0:1], v3, v17, s[0:1]
	v_mad_u64_u32 v[20:21], s[0:1], s3, v21, v[18:19]
	v_lshlrev_b64 v[16:17], 3, v[22:23]
	v_mad_u64_u32 v[21:22], s[0:1], s2, v66, 0
	v_add_co_u32_e64 v42, s[0:1], v2, v16
	v_mov_b32_e32 v18, v22
	v_addc_co_u32_e64 v43, s[0:1], v3, v17, s[0:1]
	v_lshlrev_b64 v[16:17], 3, v[19:20]
	v_mad_u64_u32 v[18:19], s[0:1], s3, v66, v[18:19]
	v_add_u32_e32 v23, 0x5e8, v62
	v_mad_u64_u32 v[19:20], s[0:1], s2, v23, 0
	v_add_co_u32_e64 v44, s[0:1], v2, v16
	v_mov_b32_e32 v22, v18
	v_mov_b32_e32 v18, v20
	v_addc_co_u32_e64 v45, s[0:1], v3, v17, s[0:1]
	v_lshlrev_b64 v[16:17], 3, v[21:22]
	v_mad_u64_u32 v[20:21], s[0:1], s3, v23, v[18:19]
	v_add_u32_e32 v23, 0xa20, v62
	v_mad_u64_u32 v[21:22], s[0:1], s2, v23, 0
	v_add_co_u32_e64 v67, s[0:1], v2, v16
	v_mov_b32_e32 v18, v22
	v_addc_co_u32_e64 v68, s[0:1], v3, v17, s[0:1]
	v_lshlrev_b64 v[16:17], 3, v[19:20]
	v_mad_u64_u32 v[18:19], s[0:1], s3, v23, v[18:19]
	v_add_u32_e32 v87, 0x21c, v62
	v_mad_u64_u32 v[19:20], s[0:1], s2, v87, 0
	v_add_co_u32_e64 v69, s[0:1], v2, v16
	v_mov_b32_e32 v22, v18
	v_mov_b32_e32 v18, v20
	v_addc_co_u32_e64 v70, s[0:1], v3, v17, s[0:1]
	v_lshlrev_b64 v[16:17], 3, v[21:22]
	v_mad_u64_u32 v[20:21], s[0:1], s3, v87, v[18:19]
	v_add_u32_e32 v23, 0x654, v62
	;; [unrolled: 15-line block ×8, first 2 shown]
	v_mad_u64_u32 v[21:22], s[0:1], s2, v23, 0
	v_add_co_u32_e64 v100, s[0:1], v2, v16
	v_mov_b32_e32 v18, v22
	v_addc_co_u32_e64 v101, s[0:1], v3, v17, s[0:1]
	v_lshlrev_b64 v[16:17], 3, v[19:20]
	v_mad_u64_u32 v[18:19], s[0:1], s3, v23, v[18:19]
	v_add_u32_e32 v23, 0xc3c, v62
	v_mad_u64_u32 v[19:20], s[0:1], s2, v23, 0
	v_add_co_u32_e64 v102, s[0:1], v2, v16
	v_mov_b32_e32 v22, v18
	v_mov_b32_e32 v18, v20
	v_addc_co_u32_e64 v103, s[0:1], v3, v17, s[0:1]
	v_lshlrev_b64 v[16:17], 3, v[21:22]
	v_mad_u64_u32 v[20:21], s[0:1], s3, v23, v[18:19]
	v_add_co_u32_e64 v104, s[0:1], v2, v16
	v_addc_co_u32_e64 v105, s[0:1], v3, v17, s[0:1]
	v_lshlrev_b64 v[16:17], 3, v[19:20]
	v_add_co_u32_e64 v106, s[0:1], v2, v16
	v_addc_co_u32_e64 v107, s[0:1], v3, v17, s[0:1]
	global_load_dwordx2 v[56:57], v[0:1], off
	global_load_dwordx2 v[60:61], v[4:5], off
	global_load_dwordx2 v[58:59], v[6:7], off
	global_load_dwordx2 v[50:51], v[8:9], off
	global_load_dwordx2 v[54:55], v[10:11], off
	global_load_dwordx2 v[52:53], v[12:13], off
	global_load_dwordx2 v[38:39], v[14:15], off
	global_load_dwordx2 v[48:49], v[24:25], off
	global_load_dwordx2 v[46:47], v[34:35], off
	global_load_dwordx2 v[22:23], v[40:41], off
	global_load_dwordx2 v[32:33], v[42:43], off
	global_load_dwordx2 v[30:31], v[44:45], off
	global_load_dwordx2 v[16:17], v[67:68], off
	global_load_dwordx2 v[28:29], v[69:70], off
	global_load_dwordx2 v[26:27], v[71:72], off
                                        ; kill: killed $vgpr67 killed $vgpr68
                                        ; kill: killed $vgpr12 killed $vgpr13
                                        ; kill: killed $vgpr4 killed $vgpr5
                                        ; kill: killed $vgpr71 killed $vgpr72
                                        ; kill: killed $vgpr42 killed $vgpr43
                                        ; kill: killed $vgpr14 killed $vgpr15
                                        ; kill: killed $vgpr34 killed $vgpr35
                                        ; kill: killed $vgpr10 killed $vgpr11
                                        ; kill: killed $vgpr0 killed $vgpr1
                                        ; kill: killed $vgpr69 killed $vgpr70
                                        ; kill: killed $vgpr40 killed $vgpr41
                                        ; kill: killed $vgpr6 killed $vgpr7
                                        ; kill: killed $vgpr44 killed $vgpr45
                                        ; kill: killed $vgpr24 killed $vgpr25
                                        ; kill: killed $vgpr8 killed $vgpr9
	global_load_dwordx2 v[24:25], v[73:74], off
	s_nop 0
	global_load_dwordx2 v[44:45], v[75:76], off
	global_load_dwordx2 v[42:43], v[77:78], off
	;; [unrolled: 1-line block ×14, first 2 shown]
.LBB0_13:
	s_or_b64 exec, exec, s[4:5]
	s_waitcnt vmcnt(27)
	v_add_f32_e32 v68, v58, v60
	v_add_f32_e32 v67, v60, v56
	v_fmac_f32_e32 v56, -0.5, v68
	v_sub_f32_e32 v68, v61, v59
	v_mov_b32_e32 v69, v56
	v_fmac_f32_e32 v69, 0x3f5db3d7, v68
	v_fmac_f32_e32 v56, 0xbf5db3d7, v68
	v_add_f32_e32 v68, v61, v57
	v_sub_f32_e32 v95, v60, v58
	s_waitcnt vmcnt(24)
	v_add_f32_e32 v60, v52, v54
	v_add_f32_e32 v61, v59, v61
	;; [unrolled: 1-line block ×5, first 2 shown]
	v_fmac_f32_e32 v50, -0.5, v60
	v_mad_u32_u24 v100, v62, 12, 0
	ds_write2_b32 v100, v58, v69 offset1:1
	v_sub_f32_e32 v58, v55, v53
	v_mov_b32_e32 v60, v50
	v_fmac_f32_e32 v60, 0x3f5db3d7, v58
	v_fmac_f32_e32 v50, 0xbf5db3d7, v58
	s_waitcnt vmcnt(21)
	v_add_f32_e32 v58, v46, v48
	v_add_f32_e32 v59, v52, v59
	ds_write_b32 v100, v56 offset:8
	v_mad_i32_i24 v101, v63, 12, 0
	v_add_f32_e32 v56, v48, v38
	v_fmac_f32_e32 v38, -0.5, v58
	ds_write2_b32 v101, v59, v60 offset1:1
	v_sub_f32_e32 v58, v49, v47
	v_mov_b32_e32 v59, v38
	v_add_f32_e32 v56, v46, v56
	v_fmac_f32_e32 v59, 0x3f5db3d7, v58
	v_mad_i32_i24 v102, v64, 12, 0
	ds_write_b32 v101, v50 offset:8
	ds_write2_b32 v102, v56, v59 offset1:1
	s_waitcnt vmcnt(18)
	v_add_f32_e32 v56, v30, v32
	v_add_f32_e32 v50, v32, v22
	v_fmac_f32_e32 v22, -0.5, v56
	v_fmac_f32_e32 v38, 0xbf5db3d7, v58
	v_sub_f32_e32 v56, v33, v31
	v_mov_b32_e32 v58, v22
	v_add_f32_e32 v50, v30, v50
	v_fmac_f32_e32 v58, 0x3f5db3d7, v56
	v_mad_i32_i24 v73, v65, 12, 0
	ds_write_b32 v102, v38 offset:8
	ds_write2_b32 v73, v50, v58 offset1:1
	s_waitcnt vmcnt(15)
	v_add_f32_e32 v50, v26, v28
	v_add_f32_e32 v38, v28, v16
	v_fmac_f32_e32 v16, -0.5, v50
	v_fmac_f32_e32 v22, 0xbf5db3d7, v56
	;; [unrolled: 12-line block ×4, first 2 shown]
	v_sub_f32_e32 v22, v41, v35
	v_mov_b32_e32 v38, v20
	v_add_f32_e32 v16, v34, v16
	v_fmac_f32_e32 v38, 0x3f5db3d7, v22
	v_mad_i32_i24 v103, v88, 12, 0
	v_fmac_f32_e32 v20, 0xbf5db3d7, v22
	s_waitcnt vmcnt(6)
	v_add_f32_e32 v22, v14, v18
	ds_write_b32 v60, v24 offset:8
	ds_write2_b32 v103, v16, v38 offset1:1
	v_add_f32_e32 v16, v18, v12
	v_fmac_f32_e32 v12, -0.5, v22
	v_sub_f32_e32 v22, v19, v15
	v_mov_b32_e32 v24, v12
	v_add_f32_e32 v16, v14, v16
	v_fmac_f32_e32 v24, 0x3f5db3d7, v22
	ds_write_b32 v103, v20 offset:8
	v_mad_i32_i24 v104, v89, 12, 0
	s_waitcnt vmcnt(3)
	v_add_f32_e32 v20, v8, v10
	ds_write2_b32 v104, v16, v24 offset1:1
	v_add_f32_e32 v16, v10, v6
	v_fmac_f32_e32 v6, -0.5, v20
	v_fmac_f32_e32 v12, 0xbf5db3d7, v22
	v_sub_f32_e32 v20, v11, v9
	v_mov_b32_e32 v22, v6
	v_add_f32_e32 v16, v8, v16
	v_fmac_f32_e32 v22, 0x3f5db3d7, v20
	v_mad_i32_i24 v105, v90, 12, 0
	ds_write_b32 v104, v12 offset:8
	ds_write2_b32 v105, v16, v22 offset1:1
	s_waitcnt vmcnt(0)
	v_add_f32_e32 v16, v4, v2
	v_add_f32_e32 v12, v2, v0
	v_fmac_f32_e32 v0, -0.5, v16
	v_sub_f32_e32 v16, v3, v5
	v_fmac_f32_e32 v6, 0xbf5db3d7, v20
	v_mov_b32_e32 v20, v0
	v_mad_i32_i24 v106, v91, 12, 0
	v_fmac_f32_e32 v0, 0xbf5db3d7, v16
	ds_write_b32 v105, v6 offset:8
	ds_write_b32 v106, v0 offset:8
	v_lshlrev_b32_e32 v0, 3, v88
	v_sub_u32_e32 v94, v103, v0
	v_lshlrev_b32_e32 v0, 3, v89
	v_fmac_f32_e32 v57, -0.5, v61
	v_sub_u32_e32 v50, v104, v0
	v_lshlrev_b32_e32 v0, 3, v90
	v_add_f32_e32 v12, v4, v12
	v_fmac_f32_e32 v20, 0x3f5db3d7, v16
	v_mov_b32_e32 v107, v57
	v_sub_u32_e32 v56, v105, v0
	v_lshlrev_b32_e32 v0, 3, v91
	v_lshl_add_u32 v61, v62, 2, 0
	v_lshlrev_b32_e32 v80, 3, v65
	v_lshlrev_b32_e32 v82, 3, v66
	;; [unrolled: 1-line block ×3, first 2 shown]
	v_fmac_f32_e32 v57, 0x3f5db3d7, v95
	ds_write2_b32 v106, v12, v20 offset1:1
	s_waitcnt lgkmcnt(0)
	s_barrier
	v_sub_u32_e32 v96, v106, v0
	v_add_u32_e32 v68, 0x1000, v61
	v_add_u32_e32 v67, 0x2000, v61
	v_lshl_add_u32 v69, v63, 2, 0
	v_lshl_add_u32 v72, v64, 2, 0
	v_add_u32_e32 v76, 0x1400, v61
	v_add_u32_e32 v75, 0x2400, v61
	v_sub_u32_e32 v84, v73, v80
	v_sub_u32_e32 v85, v74, v82
	v_add_u32_e32 v81, 0x1600, v61
	v_add_u32_e32 v79, 0x2800, v61
	v_sub_u32_e32 v86, v60, v83
	v_add_u32_e32 v70, 0x1a00, v61
	v_add_u32_e32 v71, 0x2a00, v61
	ds_read_b32 v59, v61
	ds_read_b32 v58, v69
	;; [unrolled: 1-line block ×8, first 2 shown]
	v_add_u32_e32 v78, 0x1e00, v61
	v_add_u32_e32 v77, 0x2e00, v61
	ds_read_b32 v6, v56
	ds_read_b32 v0, v96
	ds_read2_b32 v[92:93], v68 offset0:56 offset1:164
	ds_read2_b32 v[97:98], v67 offset0:112 offset1:220
	;; [unrolled: 1-line block ×10, first 2 shown]
	s_waitcnt lgkmcnt(0)
	s_barrier
	ds_write_b32 v100, v57 offset:8
	v_add_f32_e32 v57, v55, v51
	v_add_f32_e32 v55, v53, v55
	v_sub_f32_e32 v52, v54, v52
	v_fmac_f32_e32 v51, -0.5, v55
	v_fmac_f32_e32 v107, 0xbf5db3d7, v95
	v_mov_b32_e32 v54, v51
	v_fmac_f32_e32 v51, 0x3f5db3d7, v52
	ds_write2_b32 v100, v99, v107 offset1:1
	ds_write_b32 v101, v51 offset:8
	v_add_f32_e32 v51, v49, v39
	v_add_f32_e32 v49, v47, v49
	v_sub_f32_e32 v46, v48, v46
	v_fmac_f32_e32 v39, -0.5, v49
	v_add_f32_e32 v53, v53, v57
	v_fmac_f32_e32 v54, 0xbf5db3d7, v52
	v_mov_b32_e32 v48, v39
	v_fmac_f32_e32 v39, 0x3f5db3d7, v46
	ds_write2_b32 v101, v53, v54 offset1:1
	ds_write_b32 v102, v39 offset:8
	v_add_f32_e32 v39, v33, v23
	v_add_f32_e32 v33, v31, v33
	v_sub_f32_e32 v30, v32, v30
	v_add_f32_e32 v32, v29, v17
	v_add_f32_e32 v29, v27, v29
	v_fmac_f32_e32 v23, -0.5, v33
	v_add_f32_e32 v47, v47, v51
	v_fmac_f32_e32 v48, 0xbf5db3d7, v46
	v_sub_f32_e32 v26, v28, v26
	v_add_f32_e32 v27, v27, v32
	v_add_f32_e32 v32, v43, v45
	v_mov_b32_e32 v33, v23
	v_fmac_f32_e32 v23, 0x3f5db3d7, v30
	v_fmac_f32_e32 v17, -0.5, v29
	ds_write2_b32 v102, v47, v48 offset1:1
	v_add_f32_e32 v31, v31, v39
	v_add_f32_e32 v28, v45, v25
	v_fmac_f32_e32 v33, 0xbf5db3d7, v30
	ds_write_b32 v73, v23 offset:8
	v_mov_b32_e32 v23, v17
	v_fmac_f32_e32 v17, 0x3f5db3d7, v26
	v_fmac_f32_e32 v25, -0.5, v32
	v_sub_f32_e32 v39, v44, v42
	v_add_f32_e32 v42, v41, v21
	v_add_f32_e32 v41, v35, v41
	ds_write2_b32 v73, v31, v33 offset1:1
	ds_write_b32 v74, v17 offset:8
	v_mov_b32_e32 v17, v25
	v_add_f32_e32 v28, v43, v28
	v_fmac_f32_e32 v23, 0xbf5db3d7, v26
	v_fmac_f32_e32 v17, 0xbf5db3d7, v39
	v_fmac_f32_e32 v21, -0.5, v41
	v_sub_f32_e32 v34, v40, v34
	ds_write2_b32 v74, v27, v23 offset1:1
	ds_write2_b32 v60, v28, v17 offset1:1
	v_mov_b32_e32 v17, v21
	v_add_f32_e32 v35, v35, v42
	v_fmac_f32_e32 v25, 0x3f5db3d7, v39
	v_fmac_f32_e32 v17, 0xbf5db3d7, v34
	ds_write_b32 v60, v25 offset:8
	ds_write2_b32 v103, v35, v17 offset1:1
	v_add_f32_e32 v17, v19, v13
	v_add_f32_e32 v19, v15, v19
	v_sub_f32_e32 v14, v18, v14
	v_fmac_f32_e32 v13, -0.5, v19
	v_fmac_f32_e32 v21, 0x3f5db3d7, v34
	v_add_f32_e32 v15, v15, v17
	v_mov_b32_e32 v17, v13
	v_fmac_f32_e32 v13, 0x3f5db3d7, v14
	ds_write_b32 v103, v21 offset:8
	ds_write_b32 v104, v13 offset:8
	v_add_f32_e32 v13, v11, v7
	v_add_f32_e32 v11, v9, v11
	v_sub_f32_e32 v8, v10, v8
	v_fmac_f32_e32 v7, -0.5, v11
	v_fmac_f32_e32 v17, 0xbf5db3d7, v14
	v_mov_b32_e32 v10, v7
	v_fmac_f32_e32 v7, 0x3f5db3d7, v8
	ds_write2_b32 v104, v15, v17 offset1:1
	ds_write_b32 v105, v7 offset:8
	v_add_f32_e32 v7, v3, v1
	v_add_f32_e32 v3, v5, v3
	v_fmac_f32_e32 v1, -0.5, v3
	v_sub_f32_e32 v2, v2, v4
	v_mov_b32_e32 v3, v1
	v_add_f32_e32 v9, v9, v13
	v_fmac_f32_e32 v10, 0xbf5db3d7, v8
	v_add_f32_e32 v4, v5, v7
	v_fmac_f32_e32 v3, 0xbf5db3d7, v2
	v_fmac_f32_e32 v1, 0x3f5db3d7, v2
	s_movk_i32 s0, 0xab
	ds_write2_b32 v105, v9, v10 offset1:1
	ds_write2_b32 v106, v4, v3 offset1:1
	ds_write_b32 v106, v1 offset:8
	v_mul_lo_u16_sdwa v1, v62, s0 dst_sel:DWORD dst_unused:UNUSED_PAD src0_sel:BYTE_0 src1_sel:DWORD
	v_lshrrev_b16_e32 v11, 9, v1
	v_mul_lo_u16_e32 v1, 3, v11
	v_sub_u16_e32 v13, v62, v1
	v_mov_b32_e32 v1, 4
	v_lshlrev_b32_sdwa v2, v1, v13 dst_sel:DWORD dst_unused:UNUSED_PAD src0_sel:DWORD src1_sel:BYTE_0
	s_waitcnt lgkmcnt(0)
	s_barrier
	global_load_dwordx4 v[7:10], v2, s[8:9]
	v_mul_lo_u16_sdwa v2, v63, s0 dst_sel:DWORD dst_unused:UNUSED_PAD src0_sel:BYTE_0 src1_sel:DWORD
	v_lshrrev_b16_e32 v14, 9, v2
	v_mul_lo_u16_e32 v2, 3, v14
	v_sub_u16_e32 v15, v63, v2
	v_lshlrev_b32_sdwa v1, v1, v15 dst_sel:DWORD dst_unused:UNUSED_PAD src0_sel:DWORD src1_sel:BYTE_0
	global_load_dwordx4 v[25:28], v1, s[8:9]
	s_mov_b32 s0, 0xaaab
	v_mul_u32_u24_sdwa v1, v64, s0 dst_sel:DWORD dst_unused:UNUSED_PAD src0_sel:WORD_0 src1_sel:DWORD
	v_lshrrev_b32_e32 v17, 17, v1
	v_mul_lo_u16_e32 v1, 3, v17
	v_sub_u16_e32 v19, v64, v1
	v_lshlrev_b32_e32 v1, 4, v19
	global_load_dwordx4 v[29:32], v1, s[8:9]
	ds_read2_b32 v[33:34], v68 offset0:56 offset1:164
	ds_read2_b32 v[46:47], v67 offset0:112 offset1:220
	v_mul_u32_u24_sdwa v18, v88, s0 dst_sel:DWORD dst_unused:UNUSED_PAD src0_sel:WORD_0 src1_sel:DWORD
	v_mul_u32_u24_sdwa v23, v90, s0 dst_sel:DWORD dst_unused:UNUSED_PAD src0_sel:WORD_0 src1_sel:DWORD
	v_lshrrev_b32_e32 v126, 17, v23
	v_mul_lo_u16_e32 v23, 3, v126
	v_sub_u16_e32 v127, v90, v23
	v_lshlrev_b32_e32 v23, 4, v127
	v_mul_u32_u24_e32 v11, 36, v11
	v_mul_u32_u24_e32 v14, 36, v14
	s_mov_b32 s1, 0x3f167918
	s_waitcnt vmcnt(2) lgkmcnt(1)
	v_mul_f32_e32 v1, v33, v8
	v_fma_f32 v3, v92, v7, -v1
	s_waitcnt lgkmcnt(0)
	v_mul_f32_e32 v1, v46, v10
	v_fma_f32 v5, v97, v9, -v1
	v_mul_u32_u24_sdwa v1, v65, s0 dst_sel:DWORD dst_unused:UNUSED_PAD src0_sel:WORD_0 src1_sel:DWORD
	v_mul_f32_e32 v4, v92, v8
	v_lshrrev_b32_e32 v48, 17, v1
	v_mul_u32_u24_sdwa v8, v66, s0 dst_sel:DWORD dst_unused:UNUSED_PAD src0_sel:WORD_0 src1_sel:DWORD
	v_mul_lo_u16_e32 v1, 3, v48
	v_lshrrev_b32_e32 v55, 17, v8
	v_fmac_f32_e32 v4, v33, v7
	v_mul_f32_e32 v7, v97, v10
	v_sub_u16_e32 v49, v65, v1
	v_mul_lo_u16_e32 v8, 3, v55
	v_fmac_f32_e32 v7, v46, v9
	v_lshlrev_b32_e32 v1, 4, v49
	v_sub_u16_e32 v57, v66, v8
	v_mul_u32_u24_sdwa v9, v87, s0 dst_sel:DWORD dst_unused:UNUSED_PAD src0_sel:WORD_0 src1_sel:DWORD
	global_load_dwordx4 v[39:42], v1, s[8:9]
	v_lshlrev_b32_e32 v8, 4, v57
	global_load_dwordx4 v[43:46], v8, s[8:9]
	v_lshrrev_b32_e32 v92, 17, v9
	s_waitcnt vmcnt(3)
	v_mul_f32_e32 v1, v34, v26
	v_mul_lo_u16_e32 v9, 3, v92
	v_fma_f32 v1, v93, v25, -v1
	v_mul_f32_e32 v2, v93, v26
	v_sub_u16_e32 v93, v87, v9
	v_lshlrev_b32_e32 v9, 4, v93
	global_load_dwordx4 v[51:54], v9, s[8:9]
	v_mul_f32_e32 v9, v98, v28
	v_mul_f32_e32 v8, v47, v28
	v_fmac_f32_e32 v9, v47, v27
	v_lshrrev_b32_e32 v47, 17, v18
	v_mul_lo_u16_e32 v18, 3, v47
	v_sub_u16_e32 v95, v88, v18
	v_lshlrev_b32_e32 v18, 4, v95
	v_fma_f32 v8, v98, v27, -v8
	global_load_dwordx4 v[97:100], v18, s[8:9]
	v_mul_u32_u24_sdwa v18, v89, s0 dst_sel:DWORD dst_unused:UNUSED_PAD src0_sel:WORD_0 src1_sel:DWORD
	v_lshrrev_b32_e32 v124, 17, v18
	v_mul_lo_u16_e32 v18, 3, v124
	v_sub_u16_e32 v125, v89, v18
	v_fmac_f32_e32 v2, v34, v25
	ds_read2_b32 v[25:26], v76 offset0:16 offset1:124
	v_lshlrev_b32_e32 v18, 4, v125
	global_load_dwordx4 v[101:104], v18, s[8:9]
	global_load_dwordx4 v[87:90], v23, s[8:9]
	v_mul_u32_u24_sdwa v23, v91, s0 dst_sel:DWORD dst_unused:UNUSED_PAD src0_sel:WORD_0 src1_sel:DWORD
	v_lshrrev_b32_e32 v128, 17, v23
	v_mul_lo_u16_e32 v23, 3, v128
	v_sub_u16_e32 v91, v91, v23
	s_waitcnt vmcnt(6) lgkmcnt(0)
	v_mul_f32_e32 v10, v25, v30
	v_lshlrev_b32_e32 v23, 4, v91
	v_fma_f32 v10, v108, v29, -v10
	v_mul_f32_e32 v18, v108, v30
	global_load_dwordx4 v[105:108], v23, s[8:9]
	ds_read2_b32 v[27:28], v75 offset0:72 offset1:180
	v_fmac_f32_e32 v18, v25, v29
	s_mov_b32 s0, 0xe38f
	s_waitcnt lgkmcnt(0)
	v_mul_f32_e32 v21, v27, v32
	v_fma_f32 v21, v110, v31, -v21
	v_mul_f32_e32 v110, v110, v32
	v_fmac_f32_e32 v110, v27, v31
	s_waitcnt vmcnt(6)
	v_mul_f32_e32 v23, v26, v40
	v_fma_f32 v129, v109, v39, -v23
	v_mul_f32_e32 v109, v109, v40
	v_mul_f32_e32 v23, v28, v42
	v_fmac_f32_e32 v109, v26, v39
	ds_read2_b32 v[25:26], v81 offset0:104 offset1:212
	v_fma_f32 v130, v111, v41, -v23
	v_mul_f32_e32 v111, v111, v42
	v_fmac_f32_e32 v111, v28, v41
	ds_read2_b32 v[27:28], v79 offset0:32 offset1:140
	s_waitcnt vmcnt(5) lgkmcnt(1)
	v_mul_f32_e32 v23, v25, v44
	v_fma_f32 v131, v112, v43, -v23
	v_mul_f32_e32 v112, v112, v44
	v_fmac_f32_e32 v112, v25, v43
	s_waitcnt lgkmcnt(0)
	v_mul_f32_e32 v23, v27, v46
	v_fma_f32 v132, v114, v45, -v23
	s_waitcnt vmcnt(4)
	v_mul_f32_e32 v23, v26, v52
	v_fma_f32 v133, v113, v51, -v23
	v_mul_f32_e32 v113, v113, v52
	v_fmac_f32_e32 v113, v26, v51
	v_mul_f32_e32 v23, v28, v54
	ds_read2_b32 v[25:26], v70 offset0:64 offset1:172
	v_fma_f32 v134, v115, v53, -v23
	v_mul_f32_e32 v115, v115, v54
	v_fmac_f32_e32 v115, v28, v53
	ds_read2_b32 v[28:29], v71 offset0:120 offset1:228
	ds_read2_b32 v[39:40], v78 offset0:24 offset1:132
	;; [unrolled: 1-line block ×3, first 2 shown]
	v_mul_f32_e32 v114, v114, v46
	s_waitcnt vmcnt(3) lgkmcnt(3)
	v_mul_f32_e32 v23, v25, v98
	v_mul_f32_e32 v31, v116, v98
	v_fmac_f32_e32 v114, v27, v45
	v_fma_f32 v27, v116, v97, -v23
	v_fmac_f32_e32 v31, v25, v97
	v_mul_f32_e32 v97, v118, v100
	s_waitcnt lgkmcnt(2)
	v_mul_f32_e32 v23, v28, v100
	v_fmac_f32_e32 v97, v28, v99
	s_waitcnt vmcnt(2)
	v_mul_f32_e32 v28, v117, v102
	v_mul_f32_e32 v25, v29, v104
	v_mul_f32_e32 v98, v119, v104
	v_fma_f32 v34, v118, v99, -v23
	v_mul_f32_e32 v23, v26, v102
	v_fmac_f32_e32 v28, v26, v101
	v_fma_f32 v32, v119, v103, -v25
	v_fmac_f32_e32 v98, v29, v103
	s_waitcnt vmcnt(1) lgkmcnt(1)
	v_mul_f32_e32 v25, v39, v88
	v_mul_f32_e32 v29, v120, v88
	s_waitcnt lgkmcnt(0)
	v_mul_f32_e32 v26, v41, v90
	s_waitcnt vmcnt(0)
	v_mul_f32_e32 v30, v121, v106
	v_fma_f32 v25, v120, v87, -v25
	v_fmac_f32_e32 v29, v39, v87
	v_fma_f32 v33, v122, v89, -v26
	v_mul_f32_e32 v26, v40, v106
	v_fmac_f32_e32 v30, v40, v105
	v_add_f32_e32 v40, v3, v5
	v_mov_b32_e32 v87, 2
	v_add_f32_e32 v39, v59, v3
	v_fmac_f32_e32 v59, -0.5, v40
	v_lshlrev_b32_sdwa v13, v87, v13 dst_sel:DWORD dst_unused:UNUSED_PAD src0_sel:DWORD src1_sel:BYTE_0
	v_add3_u32 v11, 0, v11, v13
	v_add_f32_e32 v13, v39, v5
	v_sub_f32_e32 v39, v4, v7
	v_mov_b32_e32 v40, v59
	v_fmac_f32_e32 v40, 0x3f5db3d7, v39
	v_fmac_f32_e32 v59, 0xbf5db3d7, v39
	v_add_f32_e32 v39, v1, v8
	v_fma_f32 v23, v117, v101, -v23
	v_mul_f32_e32 v99, v122, v90
	v_fma_f32 v26, v121, v105, -v26
	v_mul_f32_e32 v35, v42, v108
	v_mul_f32_e32 v100, v123, v108
	ds_read_b32 v101, v61
	ds_read_b32 v102, v69
	ds_read_b32 v105, v72
	ds_read_b32 v106, v84
	ds_read_b32 v108, v85
	ds_read_b32 v118, v86
	ds_read_b32 v119, v50
	ds_read_b32 v120, v94
	ds_read_b32 v121, v56
	ds_read_b32 v122, v96
	s_waitcnt lgkmcnt(0)
	s_barrier
	ds_write2_b32 v11, v13, v40 offset1:3
	v_add_f32_e32 v13, v58, v1
	v_fmac_f32_e32 v58, -0.5, v39
	v_lshlrev_b32_sdwa v15, v87, v15 dst_sel:DWORD dst_unused:UNUSED_PAD src0_sel:DWORD src1_sel:BYTE_0
	v_add3_u32 v14, 0, v14, v15
	v_sub_f32_e32 v15, v2, v9
	v_mov_b32_e32 v39, v58
	v_add_f32_e32 v13, v13, v8
	v_fmac_f32_e32 v39, 0x3f5db3d7, v15
	v_fmac_f32_e32 v58, 0xbf5db3d7, v15
	v_add_f32_e32 v15, v10, v21
	ds_write_b32 v11, v59 offset:24
	ds_write2_b32 v14, v13, v39 offset1:3
	v_add_f32_e32 v13, v38, v10
	v_fmac_f32_e32 v38, -0.5, v15
	v_mul_u32_u24_e32 v15, 36, v17
	v_lshlrev_b32_e32 v17, 2, v19
	v_add3_u32 v15, 0, v15, v17
	v_sub_f32_e32 v17, v18, v110
	v_mov_b32_e32 v19, v38
	v_add_f32_e32 v13, v13, v21
	v_fmac_f32_e32 v19, 0x3f5db3d7, v17
	v_fmac_f32_e32 v38, 0xbf5db3d7, v17
	v_add_f32_e32 v17, v129, v130
	ds_write_b32 v14, v58 offset:24
	ds_write2_b32 v15, v13, v19 offset1:3
	v_add_f32_e32 v13, v24, v129
	v_fmac_f32_e32 v24, -0.5, v17
	v_mul_u32_u24_e32 v17, 36, v48
	v_lshlrev_b32_e32 v19, 2, v49
	ds_write_b32 v15, v38 offset:24
	v_add3_u32 v17, 0, v17, v19
	v_sub_f32_e32 v19, v109, v111
	v_mov_b32_e32 v38, v24
	v_add_f32_e32 v13, v13, v130
	v_fmac_f32_e32 v38, 0x3f5db3d7, v19
	v_fmac_f32_e32 v24, 0xbf5db3d7, v19
	v_add_f32_e32 v19, v131, v132
	ds_write2_b32 v17, v13, v38 offset1:3
	v_add_f32_e32 v13, v22, v131
	v_fmac_f32_e32 v22, -0.5, v19
	ds_write_b32 v17, v24 offset:24
	v_mul_u32_u24_e32 v19, 36, v55
	v_lshlrev_b32_e32 v24, 2, v57
	v_add3_u32 v19, 0, v19, v24
	v_sub_f32_e32 v24, v112, v114
	v_mov_b32_e32 v38, v22
	v_add_f32_e32 v13, v13, v132
	v_fmac_f32_e32 v38, 0x3f5db3d7, v24
	v_fmac_f32_e32 v22, 0xbf5db3d7, v24
	v_add_f32_e32 v24, v133, v134
	ds_write2_b32 v19, v13, v38 offset1:3
	v_add_f32_e32 v13, v20, v133
	v_fmac_f32_e32 v20, -0.5, v24
	ds_write_b32 v19, v22 offset:24
	v_mul_u32_u24_e32 v22, 36, v92
	v_lshlrev_b32_e32 v24, 2, v93
	;; [unrolled: 13-line block ×4, first 2 shown]
	v_add3_u32 v16, 0, v16, v24
	v_sub_f32_e32 v24, v28, v98
	v_mov_b32_e32 v38, v12
	v_add_f32_e32 v13, v13, v32
	v_fmac_f32_e32 v38, 0x3f5db3d7, v24
	v_fmac_f32_e32 v12, 0xbf5db3d7, v24
	v_add_f32_e32 v24, v25, v33
	v_fmac_f32_e32 v99, v41, v89
	ds_write2_b32 v16, v13, v38 offset1:3
	v_add_f32_e32 v13, v6, v25
	v_fmac_f32_e32 v6, -0.5, v24
	ds_write_b32 v16, v12 offset:24
	v_mul_u32_u24_e32 v12, 36, v126
	v_lshlrev_b32_e32 v24, 2, v127
	v_fma_f32 v35, v123, v107, -v35
	v_add3_u32 v12, 0, v12, v24
	v_sub_f32_e32 v24, v29, v99
	v_mov_b32_e32 v38, v6
	v_add_f32_e32 v13, v13, v33
	v_fmac_f32_e32 v38, 0x3f5db3d7, v24
	v_fmac_f32_e32 v6, 0xbf5db3d7, v24
	v_add_f32_e32 v24, v26, v35
	v_fmac_f32_e32 v100, v42, v107
	ds_write2_b32 v12, v13, v38 offset1:3
	v_add_f32_e32 v13, v0, v26
	v_fmac_f32_e32 v0, -0.5, v24
	ds_write_b32 v12, v6 offset:24
	v_mul_u32_u24_e32 v6, 36, v128
	v_lshlrev_b32_e32 v24, 2, v91
	v_add3_u32 v6, 0, v6, v24
	v_sub_f32_e32 v24, v30, v100
	v_mov_b32_e32 v38, v0
	v_add_f32_e32 v13, v13, v35
	v_fmac_f32_e32 v38, 0x3f5db3d7, v24
	ds_write2_b32 v6, v13, v38 offset1:3
	v_add_f32_e32 v13, v101, v4
	v_add_f32_e32 v4, v4, v7
	v_fmac_f32_e32 v101, -0.5, v4
	v_fmac_f32_e32 v0, 0xbf5db3d7, v24
	v_sub_f32_e32 v3, v3, v5
	ds_write_b32 v6, v0 offset:24
	v_mov_b32_e32 v0, v101
	v_add_f32_e32 v13, v13, v7
	v_fmac_f32_e32 v0, 0xbf5db3d7, v3
	s_waitcnt lgkmcnt(0)
	s_barrier
	ds_read_b32 v103, v96
	ds_read_b32 v93, v61
	;; [unrolled: 1-line block ×3, first 2 shown]
	v_add_u32_e32 v24, 0x600, v61
	v_add_u32_e32 v58, 0xa00, v61
	ds_read_b32 v104, v94
	ds_read_b32 v107, v84
	ds_read_b32 v88, v72
	ds_read2_b32 v[56:57], v76 offset0:16 offset1:124
	ds_read2_b32 v[52:53], v81 offset0:104 offset1:212
	;; [unrolled: 1-line block ×12, first 2 shown]
	s_waitcnt lgkmcnt(0)
	s_barrier
	ds_write2_b32 v11, v13, v0 offset1:3
	v_add_f32_e32 v0, v102, v2
	v_add_f32_e32 v2, v2, v9
	v_fmac_f32_e32 v102, -0.5, v2
	v_sub_f32_e32 v1, v1, v8
	v_mov_b32_e32 v2, v102
	v_fmac_f32_e32 v101, 0x3f5db3d7, v3
	v_add_f32_e32 v0, v0, v9
	v_fmac_f32_e32 v2, 0xbf5db3d7, v1
	v_fmac_f32_e32 v102, 0x3f5db3d7, v1
	v_add_f32_e32 v1, v18, v110
	ds_write_b32 v11, v101 offset:24
	ds_write2_b32 v14, v0, v2 offset1:3
	v_add_f32_e32 v0, v105, v18
	v_fmac_f32_e32 v105, -0.5, v1
	v_sub_f32_e32 v1, v10, v21
	v_mov_b32_e32 v2, v105
	v_add_f32_e32 v0, v0, v110
	v_fmac_f32_e32 v2, 0xbf5db3d7, v1
	v_fmac_f32_e32 v105, 0x3f5db3d7, v1
	v_add_f32_e32 v1, v109, v111
	ds_write_b32 v14, v102 offset:24
	ds_write2_b32 v15, v0, v2 offset1:3
	v_add_f32_e32 v0, v106, v109
	v_fmac_f32_e32 v106, -0.5, v1
	v_sub_f32_e32 v1, v129, v130
	v_mov_b32_e32 v2, v106
	;; [unrolled: 10-line block ×7, first 2 shown]
	v_add_f32_e32 v3, v30, v100
	v_fmac_f32_e32 v2, 0xbf5db3d7, v1
	v_fmac_f32_e32 v121, 0x3f5db3d7, v1
	v_add_f32_e32 v1, v122, v30
	v_fmac_f32_e32 v122, -0.5, v3
	v_add_f32_e32 v0, v0, v99
	v_sub_f32_e32 v3, v26, v35
	v_mov_b32_e32 v4, v122
	v_add_f32_e32 v1, v1, v100
	v_fmac_f32_e32 v4, 0xbf5db3d7, v3
	v_fmac_f32_e32 v122, 0x3f5db3d7, v3
	ds_write_b32 v16, v119 offset:24
	ds_write2_b32 v12, v0, v2 offset1:3
	ds_write_b32 v12, v121 offset:24
	ds_write2_b32 v6, v1, v4 offset1:3
	ds_write_b32 v6, v122 offset:24
	v_mov_b32_e32 v0, 57
	v_mul_lo_u16_sdwa v2, v63, v0 dst_sel:DWORD dst_unused:UNUSED_PAD src0_sel:BYTE_0 src1_sel:DWORD
	v_lshrrev_b16_e32 v105, 9, v2
	v_mul_lo_u16_e32 v2, 9, v105
	v_mov_b32_e32 v1, 9
	v_sub_u16_e32 v106, v63, v2
	v_mul_u32_u24_sdwa v2, v106, v1 dst_sel:DWORD dst_unused:UNUSED_PAD src0_sel:BYTE_0 src1_sel:DWORD
	v_lshlrev_b32_e32 v110, 3, v2
	v_mul_u32_u24_sdwa v2, v64, s0 dst_sel:DWORD dst_unused:UNUSED_PAD src0_sel:WORD_0 src1_sel:DWORD
	v_lshrrev_b32_e32 v101, 19, v2
	v_mul_lo_u16_e32 v2, 9, v101
	v_sub_u16_e32 v102, v64, v2
	s_waitcnt lgkmcnt(0)
	s_barrier
	global_load_dwordx4 v[28:31], v110, s[8:9] offset:48
	v_mul_u32_u24_e32 v2, 9, v102
	v_lshlrev_b32_e32 v111, 3, v2
	global_load_dwordx4 v[112:115], v111, s[8:9] offset:48
	v_mul_lo_u16_sdwa v0, v62, v0 dst_sel:DWORD dst_unused:UNUSED_PAD src0_sel:BYTE_0 src1_sel:DWORD
	v_lshrrev_b16_e32 v108, 9, v0
	v_mul_lo_u16_e32 v0, 9, v108
	v_sub_u16_e32 v109, v62, v0
	v_mul_u32_u24_sdwa v0, v109, v1 dst_sel:DWORD dst_unused:UNUSED_PAD src0_sel:BYTE_0 src1_sel:DWORD
	v_lshlrev_b32_e32 v32, 3, v0
	global_load_dwordx4 v[0:3], v32, s[8:9] offset:48
	global_load_dwordx4 v[4:7], v32, s[8:9] offset:64
	;; [unrolled: 1-line block ×6, first 2 shown]
	ds_read2_b32 v[118:119], v24 offset0:48 offset1:156
	ds_read2_b32 v[120:121], v58 offset0:116 offset1:224
	global_load_dwordx4 v[24:27], v111, s[8:9] offset:80
	global_load_dwordx2 v[58:59], v32, s[8:9] offset:112
	s_mov_b32 s0, 0x3f737871
	s_waitcnt vmcnt(9) lgkmcnt(1)
	v_mul_f32_e32 v33, v118, v29
	v_mul_f32_e32 v98, v90, v29
	v_fma_f32 v97, v90, v28, -v33
	v_fmac_f32_e32 v98, v118, v28
	s_waitcnt lgkmcnt(0)
	v_mul_f32_e32 v28, v120, v31
	v_fma_f32 v100, v116, v30, -v28
	global_load_dwordx4 v[32:35], v32, s[8:9] offset:96
	s_waitcnt vmcnt(9)
	v_mul_f32_e32 v28, v119, v113
	v_mul_f32_e32 v99, v116, v31
	v_fma_f32 v90, v91, v112, -v28
	v_mul_f32_e32 v28, v121, v115
	v_fmac_f32_e32 v99, v120, v30
	v_mul_f32_e32 v91, v91, v113
	v_fma_f32 v95, v117, v114, -v28
	global_load_dwordx4 v[28:31], v110, s[8:9] offset:96
	ds_read_b32 v113, v84
	v_fmac_f32_e32 v91, v119, v112
	v_mul_f32_e32 v92, v117, v115
	ds_read_b32 v112, v94
	ds_read_b32 v96, v96
	ds_read_b32 v94, v72
	global_load_dwordx4 v[115:118], v111, s[8:9] offset:96
	v_fmac_f32_e32 v92, v121, v114
	s_waitcnt vmcnt(10) lgkmcnt(3)
	v_mul_f32_e32 v114, v113, v1
	v_fma_f32 v114, v107, v0, -v114
	v_mul_f32_e32 v107, v107, v1
	v_fmac_f32_e32 v107, v113, v0
	s_waitcnt lgkmcnt(2)
	v_mul_f32_e32 v0, v112, v3
	v_mul_f32_e32 v119, v104, v3
	v_fma_f32 v113, v104, v2, -v0
	v_fmac_f32_e32 v119, v112, v2
	s_waitcnt vmcnt(9) lgkmcnt(1)
	v_mul_f32_e32 v2, v96, v5
	v_fma_f32 v112, v103, v4, -v2
	v_mul_f32_e32 v120, v103, v5
	global_load_dwordx2 v[103:104], v110, s[8:9] offset:112
	ds_read2_b32 v[0:1], v76 offset0:16 offset1:124
	global_load_dwordx2 v[110:111], v111, s[8:9] offset:112
	v_fmac_f32_e32 v120, v96, v4
	ds_read2_b32 v[4:5], v81 offset0:104 offset1:212
	v_mul_f32_e32 v121, v56, v7
	s_waitcnt lgkmcnt(1)
	v_mul_f32_e32 v2, v0, v7
	v_fma_f32 v96, v56, v6, -v2
	ds_read2_b32 v[2:3], v68 offset0:56 offset1:164
	v_fmac_f32_e32 v121, v0, v6
	s_waitcnt vmcnt(10)
	v_mul_f32_e32 v0, v1, v11
	v_fma_f32 v56, v57, v10, -v0
	v_mul_f32_e32 v11, v57, v11
	s_waitcnt lgkmcnt(0)
	v_mul_f32_e32 v0, v2, v9
	v_fma_f32 v57, v54, v8, -v0
	s_waitcnt vmcnt(9)
	v_mul_f32_e32 v0, v3, v13
	v_mul_f32_e32 v54, v54, v9
	v_fma_f32 v122, v55, v12, -v0
	v_mul_f32_e32 v0, v4, v15
	v_fmac_f32_e32 v54, v2, v8
	v_mul_f32_e32 v55, v55, v13
	v_fma_f32 v2, v52, v14, -v0
	v_mul_f32_e32 v0, v52, v15
	v_fmac_f32_e32 v55, v3, v12
	v_fmac_f32_e32 v0, v4, v14
	ds_read2_b32 v[3:4], v78 offset0:24 offset1:132
	v_fmac_f32_e32 v11, v1, v10
	s_waitcnt vmcnt(8)
	v_mul_f32_e32 v1, v5, v17
	v_mul_f32_e32 v17, v53, v17
	v_fmac_f32_e32 v17, v5, v16
	ds_read2_b32 v[5:6], v70 offset0:64 offset1:172
	ds_read2_b32 v[7:8], v67 offset0:112 offset1:220
	v_fma_f32 v52, v53, v16, -v1
	s_waitcnt lgkmcnt(2)
	v_mul_f32_e32 v1, v3, v19
	v_fma_f32 v16, v50, v18, -v1
	s_waitcnt vmcnt(7)
	v_mul_f32_e32 v1, v4, v23
	v_mul_f32_e32 v53, v50, v19
	v_fma_f32 v123, v51, v22, -v1
	s_waitcnt lgkmcnt(1)
	v_mul_f32_e32 v1, v5, v21
	v_fmac_f32_e32 v53, v3, v18
	v_fma_f32 v18, v48, v20, -v1
	v_mul_f32_e32 v124, v48, v21
	s_waitcnt vmcnt(6)
	v_mul_f32_e32 v1, v6, v25
	s_waitcnt lgkmcnt(0)
	v_mul_f32_e32 v3, v7, v27
	v_fmac_f32_e32 v124, v5, v20
	v_fma_f32 v19, v49, v24, -v1
	v_mul_f32_e32 v1, v49, v25
	v_fma_f32 v5, v46, v26, -v3
	v_mul_f32_e32 v3, v46, v27
	v_fmac_f32_e32 v1, v6, v24
	v_fmac_f32_e32 v3, v7, v26
	ds_read2_b32 v[6:7], v79 offset0:32 offset1:140
	ds_read2_b32 v[12:13], v75 offset0:72 offset1:180
	v_mul_f32_e32 v9, v51, v23
	v_fmac_f32_e32 v9, v4, v22
	s_waitcnt vmcnt(4)
	v_mul_f32_e32 v4, v8, v33
	v_fma_f32 v20, v47, v32, -v4
	s_waitcnt lgkmcnt(1)
	v_mul_f32_e32 v4, v6, v35
	v_fma_f32 v22, v44, v34, -v4
	ds_read2_b32 v[14:15], v71 offset0:120 offset1:228
	v_mul_f32_e32 v44, v44, v35
	v_mul_f32_e32 v21, v47, v33
	s_waitcnt vmcnt(3)
	v_mul_f32_e32 v4, v7, v31
	v_fma_f32 v125, v45, v30, -v4
	s_waitcnt lgkmcnt(1)
	v_mul_f32_e32 v4, v12, v29
	v_fma_f32 v23, v42, v28, -v4
	v_mul_f32_e32 v126, v42, v29
	s_waitcnt vmcnt(2)
	v_mul_f32_e32 v4, v13, v116
	v_fma_f32 v24, v43, v115, -v4
	v_mul_f32_e32 v4, v43, v116
	v_fmac_f32_e32 v126, v12, v28
	v_fmac_f32_e32 v4, v13, v115
	ds_read2_b32 v[12:13], v77 offset0:80 offset1:188
	v_fmac_f32_e32 v44, v6, v34
	v_mul_f32_e32 v45, v45, v31
	s_waitcnt lgkmcnt(1)
	v_mul_f32_e32 v6, v14, v118
	v_fmac_f32_e32 v21, v8, v32
	v_fmac_f32_e32 v45, v7, v30
	v_fma_f32 v8, v40, v117, -v6
	v_mul_f32_e32 v6, v40, v118
	v_mul_f32_e32 v7, v15, v59
	v_fmac_f32_e32 v6, v14, v117
	v_fma_f32 v14, v41, v58, -v7
	v_mul_f32_e32 v25, v41, v59
	s_waitcnt vmcnt(1) lgkmcnt(0)
	v_mul_f32_e32 v7, v12, v104
	v_fmac_f32_e32 v25, v15, v58
	v_fma_f32 v15, v38, v103, -v7
	v_mul_f32_e32 v58, v38, v104
	s_waitcnt vmcnt(0)
	v_mul_f32_e32 v7, v13, v111
	v_fmac_f32_e32 v58, v12, v103
	v_fma_f32 v12, v39, v110, -v7
	v_mul_f32_e32 v7, v39, v111
	v_fmac_f32_e32 v7, v13, v110
	v_sub_f32_e32 v10, v113, v96
	v_sub_f32_e32 v13, v22, v16
	v_add_f32_e32 v13, v10, v13
	v_sub_f32_e32 v10, v112, v52
	v_sub_f32_e32 v26, v14, v20
	v_add_f32_e32 v26, v10, v26
	;; [unrolled: 3-line block ×3, first 2 shown]
	v_mul_u32_u24_e32 v10, 0x168, v108
	v_lshlrev_b32_sdwa v28, v87, v109 dst_sel:DWORD dst_unused:UNUSED_PAD src0_sel:DWORD src1_sel:BYTE_0
	v_add3_u32 v59, 0, v10, v28
	v_add_f32_e32 v10, v93, v113
	v_add_f32_e32 v10, v10, v96
	;; [unrolled: 1-line block ×5, first 2 shown]
	v_fma_f32 v29, -0.5, v10, v93
	v_add_f32_e32 v10, v114, v112
	v_add_f32_e32 v10, v10, v52
	;; [unrolled: 1-line block ×5, first 2 shown]
	v_fma_f32 v103, -0.5, v10, v114
	v_add_f32_e32 v10, v17, v21
	v_fma_f32 v104, -0.5, v10, v107
	v_sub_f32_e32 v39, v112, v14
	v_mov_b32_e32 v40, v104
	v_sub_f32_e32 v34, v120, v25
	v_mov_b32_e32 v35, v103
	v_fmac_f32_e32 v40, 0xbf737871, v39
	v_sub_f32_e32 v41, v52, v20
	v_sub_f32_e32 v30, v119, v44
	v_mov_b32_e32 v31, v29
	v_fmac_f32_e32 v35, 0x3f737871, v34
	v_sub_f32_e32 v38, v17, v21
	v_fmac_f32_e32 v40, 0xbf167918, v41
	v_fmac_f32_e32 v31, 0x3f737871, v30
	v_sub_f32_e32 v32, v121, v53
	v_fmac_f32_e32 v35, 0x3f167918, v38
	v_fmac_f32_e32 v40, 0x3e9e377a, v27
	;; [unrolled: 1-line block ×4, first 2 shown]
	v_mul_f32_e32 v42, 0x3f167918, v40
	v_fmac_f32_e32 v31, 0x3e9e377a, v13
	v_fmac_f32_e32 v42, 0x3f4f1bbd, v35
	v_add_f32_e32 v43, v28, v33
	v_add_f32_e32 v46, v31, v42
	ds_read_b32 v108, v61
	ds_read_b32 v10, v69
	s_waitcnt lgkmcnt(0)
	s_barrier
	ds_write2_b32 v59, v43, v46 offset1:9
	v_add_f32_e32 v43, v113, v22
	v_fmac_f32_e32 v93, -0.5, v43
	v_sub_f32_e32 v43, v96, v113
	v_sub_f32_e32 v46, v16, v22
	v_add_f32_e32 v43, v43, v46
	v_mov_b32_e32 v46, v93
	v_fmac_f32_e32 v46, 0xbf737871, v32
	v_fmac_f32_e32 v93, 0x3f737871, v32
	;; [unrolled: 1-line block ×6, first 2 shown]
	v_add_f32_e32 v43, v112, v14
	v_fmac_f32_e32 v114, -0.5, v43
	v_mov_b32_e32 v109, v114
	v_sub_f32_e32 v43, v52, v112
	v_sub_f32_e32 v14, v20, v14
	v_fmac_f32_e32 v109, 0xbf737871, v38
	v_fmac_f32_e32 v114, 0x3f737871, v38
	v_add_f32_e32 v14, v43, v14
	v_fmac_f32_e32 v109, 0x3f167918, v34
	v_fmac_f32_e32 v114, 0xbf167918, v34
	v_add_f32_e32 v20, v120, v25
	;; [unrolled: 3-line block ×3, first 2 shown]
	v_fmac_f32_e32 v107, -0.5, v20
	v_mov_b32_e32 v110, v107
	v_fmac_f32_e32 v103, 0xbf737871, v34
	v_sub_f32_e32 v20, v17, v120
	v_sub_f32_e32 v43, v21, v25
	v_fmac_f32_e32 v110, 0x3f737871, v41
	v_fmac_f32_e32 v103, 0xbf167918, v38
	;; [unrolled: 1-line block ×3, first 2 shown]
	v_add_f32_e32 v20, v20, v43
	v_fmac_f32_e32 v110, 0xbf167918, v39
	v_fmac_f32_e32 v107, 0xbf737871, v41
	;; [unrolled: 1-line block ×9, first 2 shown]
	v_mul_f32_e32 v26, 0x3f4f1bbd, v103
	v_fmac_f32_e32 v107, 0x3e9e377a, v20
	v_mul_f32_e32 v20, 0x3f737871, v110
	v_fmac_f32_e32 v29, 0x3e9e377a, v13
	v_fma_f32 v26, v104, s1, -v26
	v_fmac_f32_e32 v20, 0x3e9e377a, v109
	v_mul_f32_e32 v43, 0x3e9e377a, v114
	v_sub_f32_e32 v13, v28, v33
	v_add_f32_e32 v27, v29, v26
	v_fma_f32 v43, v107, s0, -v43
	v_add_f32_e32 v47, v46, v20
	ds_write2_b32 v59, v27, v13 offset0:36 offset1:45
	v_sub_f32_e32 v13, v31, v42
	v_sub_f32_e32 v20, v46, v20
	ds_write2_b32 v59, v13, v20 offset0:54 offset1:63
	v_sub_f32_e32 v13, v93, v43
	v_sub_f32_e32 v20, v29, v26
	ds_write2_b32 v59, v13, v20 offset0:72 offset1:81
	v_sub_f32_e32 v13, v100, v56
	v_sub_f32_e32 v20, v125, v123
	v_add_f32_e32 v13, v13, v20
	v_sub_f32_e32 v20, v57, v18
	v_sub_f32_e32 v26, v15, v23
	v_add_f32_e32 v20, v20, v26
	v_sub_f32_e32 v26, v54, v124
	v_sub_f32_e32 v27, v58, v126
	v_add_f32_e32 v38, v124, v126
	v_add_f32_e32 v26, v26, v27
	v_mul_u32_u24_e32 v27, 0x168, v105
	v_lshlrev_b32_sdwa v28, v87, v106 dst_sel:DWORD dst_unused:UNUSED_PAD src0_sel:DWORD src1_sel:BYTE_0
	v_add_f32_e32 v33, v18, v23
	v_fma_f32 v111, -0.5, v38, v98
	v_add_f32_e32 v48, v93, v43
	v_add3_u32 v93, 0, v27, v28
	v_add_f32_e32 v28, v56, v123
	v_fma_f32 v105, -0.5, v33, v97
	v_sub_f32_e32 v38, v57, v15
	v_mov_b32_e32 v112, v111
	v_fma_f32 v28, -0.5, v28, v89
	v_sub_f32_e32 v33, v54, v58
	v_mov_b32_e32 v106, v105
	v_fmac_f32_e32 v112, 0xbf737871, v38
	v_sub_f32_e32 v39, v18, v23
	v_add_f32_e32 v27, v89, v100
	v_sub_f32_e32 v29, v99, v45
	v_mov_b32_e32 v30, v28
	v_add_f32_e32 v32, v97, v57
	v_fmac_f32_e32 v106, 0x3f737871, v33
	v_sub_f32_e32 v34, v124, v126
	v_fmac_f32_e32 v112, 0xbf167918, v39
	v_add_f32_e32 v27, v27, v56
	v_fmac_f32_e32 v30, 0x3f737871, v29
	v_sub_f32_e32 v31, v11, v9
	v_add_f32_e32 v32, v32, v18
	v_fmac_f32_e32 v106, 0x3f167918, v34
	v_fmac_f32_e32 v112, 0x3e9e377a, v26
	v_add_f32_e32 v27, v27, v123
	v_fmac_f32_e32 v30, 0x3f167918, v31
	v_add_f32_e32 v32, v32, v23
	v_fmac_f32_e32 v106, 0x3e9e377a, v20
	v_mul_f32_e32 v41, 0x3f167918, v112
	v_add_f32_e32 v27, v27, v125
	v_fmac_f32_e32 v30, 0x3e9e377a, v13
	v_add_f32_e32 v32, v32, v15
	v_fmac_f32_e32 v41, 0x3f4f1bbd, v106
	v_add_f32_e32 v42, v27, v32
	v_add_f32_e32 v43, v30, v41
	ds_write2_b32 v59, v47, v48 offset0:18 offset1:27
	ds_write2_b32 v93, v42, v43 offset1:9
	v_add_f32_e32 v42, v100, v125
	v_fmac_f32_e32 v89, -0.5, v42
	v_sub_f32_e32 v42, v56, v100
	v_sub_f32_e32 v43, v123, v125
	v_add_f32_e32 v42, v42, v43
	v_mov_b32_e32 v43, v89
	v_fmac_f32_e32 v43, 0xbf737871, v31
	v_fmac_f32_e32 v89, 0x3f737871, v31
	;; [unrolled: 1-line block ×6, first 2 shown]
	v_add_f32_e32 v42, v57, v15
	v_fmac_f32_e32 v97, -0.5, v42
	v_sub_f32_e32 v18, v18, v57
	v_mov_b32_e32 v57, v97
	v_sub_f32_e32 v15, v23, v15
	v_fmac_f32_e32 v57, 0xbf737871, v34
	v_fmac_f32_e32 v97, 0x3f737871, v34
	v_add_f32_e32 v15, v18, v15
	v_fmac_f32_e32 v57, 0x3f167918, v33
	v_fmac_f32_e32 v97, 0xbf167918, v33
	v_add_f32_e32 v18, v54, v58
	;; [unrolled: 3-line block ×3, first 2 shown]
	v_fmac_f32_e32 v98, -0.5, v18
	v_sub_f32_e32 v18, v124, v54
	v_mov_b32_e32 v54, v98
	v_fmac_f32_e32 v105, 0xbf737871, v33
	v_sub_f32_e32 v23, v126, v58
	v_fmac_f32_e32 v54, 0x3f737871, v39
	v_fmac_f32_e32 v105, 0xbf167918, v34
	;; [unrolled: 1-line block ×3, first 2 shown]
	v_add_f32_e32 v18, v18, v23
	v_fmac_f32_e32 v54, 0xbf167918, v38
	v_fmac_f32_e32 v98, 0xbf737871, v39
	;; [unrolled: 1-line block ×9, first 2 shown]
	v_mul_f32_e32 v20, 0x3f4f1bbd, v105
	v_fmac_f32_e32 v98, 0x3e9e377a, v18
	v_mul_f32_e32 v18, 0x3f737871, v54
	v_fmac_f32_e32 v28, 0x3e9e377a, v13
	v_fma_f32 v20, v111, s1, -v20
	v_fmac_f32_e32 v18, 0x3e9e377a, v57
	v_mul_f32_e32 v23, 0x3e9e377a, v97
	v_sub_f32_e32 v13, v27, v32
	v_add_f32_e32 v26, v28, v20
	v_fma_f32 v23, v98, s0, -v23
	v_add_f32_e32 v42, v43, v18
	ds_write2_b32 v93, v26, v13 offset0:36 offset1:45
	v_sub_f32_e32 v13, v30, v41
	v_sub_f32_e32 v18, v43, v18
	ds_write2_b32 v93, v13, v18 offset0:54 offset1:63
	v_sub_f32_e32 v13, v89, v23
	v_sub_f32_e32 v18, v28, v20
	;; [unrolled: 3-line block ×3, first 2 shown]
	v_add_f32_e32 v13, v13, v18
	v_sub_f32_e32 v18, v122, v19
	v_sub_f32_e32 v20, v12, v24
	v_add_f32_e32 v46, v89, v23
	v_add_f32_e32 v18, v18, v20
	v_sub_f32_e32 v20, v55, v1
	v_sub_f32_e32 v23, v7, v4
	v_add_f32_e32 v33, v1, v4
	v_add_f32_e32 v20, v20, v23
	v_mul_u32_u24_e32 v23, 0x168, v101
	v_lshlrev_b32_e32 v26, 2, v102
	v_add_f32_e32 v31, v19, v24
	v_fma_f32 v115, -0.5, v33, v91
	v_add3_u32 v89, 0, v23, v26
	v_add_f32_e32 v26, v2, v5
	v_fma_f32 v101, -0.5, v31, v90
	v_sub_f32_e32 v33, v122, v12
	v_mov_b32_e32 v116, v115
	v_fma_f32 v26, -0.5, v26, v88
	v_sub_f32_e32 v31, v55, v7
	v_mov_b32_e32 v102, v101
	v_fmac_f32_e32 v116, 0xbf737871, v33
	v_sub_f32_e32 v34, v19, v24
	v_add_f32_e32 v23, v88, v95
	v_sub_f32_e32 v27, v92, v6
	v_mov_b32_e32 v28, v26
	v_add_f32_e32 v30, v90, v122
	v_fmac_f32_e32 v102, 0x3f737871, v31
	v_sub_f32_e32 v32, v1, v4
	v_fmac_f32_e32 v116, 0xbf167918, v34
	v_add_f32_e32 v23, v23, v2
	v_fmac_f32_e32 v28, 0x3f737871, v27
	v_sub_f32_e32 v29, v0, v3
	v_add_f32_e32 v30, v30, v19
	v_fmac_f32_e32 v102, 0x3f167918, v32
	v_fmac_f32_e32 v116, 0x3e9e377a, v20
	v_add_f32_e32 v23, v23, v5
	v_fmac_f32_e32 v28, 0x3f167918, v29
	v_add_f32_e32 v30, v30, v24
	v_fmac_f32_e32 v102, 0x3e9e377a, v18
	v_mul_f32_e32 v38, 0x3f167918, v116
	v_add_f32_e32 v23, v23, v8
	v_fmac_f32_e32 v28, 0x3e9e377a, v13
	v_add_f32_e32 v30, v30, v12
	v_fmac_f32_e32 v38, 0x3f4f1bbd, v102
	v_add_f32_e32 v39, v23, v30
	v_add_f32_e32 v41, v28, v38
	ds_write2_b32 v93, v42, v46 offset0:18 offset1:27
	ds_write2_b32 v89, v39, v41 offset1:9
	v_add_f32_e32 v39, v95, v8
	v_fmac_f32_e32 v88, -0.5, v39
	v_sub_f32_e32 v39, v2, v95
	v_sub_f32_e32 v41, v5, v8
	v_add_f32_e32 v39, v39, v41
	v_mov_b32_e32 v41, v88
	v_fmac_f32_e32 v41, 0xbf737871, v29
	v_fmac_f32_e32 v88, 0x3f737871, v29
	;; [unrolled: 1-line block ×6, first 2 shown]
	v_add_f32_e32 v39, v122, v12
	v_fmac_f32_e32 v90, -0.5, v39
	v_mov_b32_e32 v117, v90
	v_sub_f32_e32 v19, v19, v122
	v_sub_f32_e32 v12, v24, v12
	v_fmac_f32_e32 v117, 0xbf737871, v32
	v_fmac_f32_e32 v90, 0x3f737871, v32
	v_add_f32_e32 v12, v19, v12
	v_fmac_f32_e32 v117, 0x3f167918, v31
	v_fmac_f32_e32 v90, 0xbf167918, v31
	v_add_f32_e32 v19, v55, v7
	;; [unrolled: 3-line block ×3, first 2 shown]
	v_fmac_f32_e32 v91, -0.5, v19
	v_sub_f32_e32 v19, v1, v55
	v_mov_b32_e32 v55, v91
	v_fmac_f32_e32 v101, 0xbf737871, v31
	v_sub_f32_e32 v24, v4, v7
	v_fmac_f32_e32 v55, 0x3f737871, v34
	v_fmac_f32_e32 v101, 0xbf167918, v32
	;; [unrolled: 1-line block ×3, first 2 shown]
	v_add_f32_e32 v19, v19, v24
	v_fmac_f32_e32 v55, 0xbf167918, v33
	v_fmac_f32_e32 v91, 0xbf737871, v34
	v_fmac_f32_e32 v26, 0xbf737871, v27
	v_fmac_f32_e32 v101, 0x3e9e377a, v18
	v_fmac_f32_e32 v115, 0x3f167918, v34
	v_fmac_f32_e32 v55, 0x3e9e377a, v19
	v_fmac_f32_e32 v91, 0x3f167918, v33
	v_fmac_f32_e32 v26, 0xbf167918, v29
	v_fmac_f32_e32 v115, 0x3e9e377a, v20
	v_mul_f32_e32 v18, 0x3f4f1bbd, v101
	v_fmac_f32_e32 v91, 0x3e9e377a, v19
	v_mul_f32_e32 v19, 0x3f737871, v55
	v_fmac_f32_e32 v26, 0x3e9e377a, v13
	v_fma_f32 v18, v115, s1, -v18
	v_fmac_f32_e32 v19, 0x3e9e377a, v117
	v_mul_f32_e32 v24, 0x3e9e377a, v90
	v_sub_f32_e32 v13, v23, v30
	v_add_f32_e32 v20, v26, v18
	v_add_f32_e32 v14, v14, v17
	;; [unrolled: 1-line block ×3, first 2 shown]
	v_fma_f32 v24, v91, s0, -v24
	v_add_f32_e32 v39, v41, v19
	ds_write2_b32 v89, v20, v13 offset0:36 offset1:45
	v_sub_f32_e32 v13, v28, v38
	v_sub_f32_e32 v19, v41, v19
	v_add_f32_e32 v17, v17, v121
	ds_write2_b32 v89, v13, v19 offset0:54 offset1:63
	v_sub_f32_e32 v13, v88, v24
	v_sub_f32_e32 v18, v26, v18
	v_add_f32_e32 v17, v17, v53
	ds_write2_b32 v89, v13, v18 offset0:72 offset1:81
	v_sub_f32_e32 v13, v113, v22
	v_add_f32_e32 v113, v17, v44
	v_add_f32_e32 v17, v121, v53
	v_fma_f32 v118, -0.5, v17, v108
	v_mov_b32_e32 v120, v118
	v_sub_f32_e32 v16, v96, v16
	v_sub_f32_e32 v18, v119, v121
	;; [unrolled: 1-line block ×3, first 2 shown]
	v_fmac_f32_e32 v120, 0xbf737871, v13
	v_add_f32_e32 v42, v88, v24
	v_add_f32_e32 v88, v18, v19
	v_add_f32_e32 v14, v14, v21
	v_mul_f32_e32 v96, 0xbf167918, v35
	v_fmac_f32_e32 v120, 0xbf167918, v16
	v_add_f32_e32 v14, v14, v25
	v_fmac_f32_e32 v96, 0x3f4f1bbd, v40
	v_fmac_f32_e32 v120, 0x3e9e377a, v88
	v_add_f32_e32 v122, v113, v14
	v_add_f32_e32 v127, v120, v96
	ds_write2_b32 v89, v39, v42 offset0:18 offset1:27
	s_waitcnt lgkmcnt(0)
	s_barrier
	v_add_u32_e32 v47, 0x800, v61
	ds_read_b32 v51, v61
	ds_read_b32 v50, v69
	;; [unrolled: 1-line block ×4, first 2 shown]
	v_add_u32_e32 v48, 0xc00, v61
	ds_read_b32 v52, v86
	ds_read_b32 v35, v85
	ds_read2_b32 v[42:43], v68 offset0:56 offset1:164
	ds_read2_b32 v[31:32], v81 offset0:104 offset1:212
	;; [unrolled: 1-line block ×12, first 2 shown]
	s_waitcnt lgkmcnt(0)
	s_barrier
	ds_write2_b32 v59, v122, v127 offset1:9
	v_add_f32_e32 v122, v119, v44
	v_fmac_f32_e32 v108, -0.5, v122
	v_sub_f32_e32 v44, v53, v44
	v_mov_b32_e32 v53, v108
	v_sub_f32_e32 v119, v121, v119
	v_fmac_f32_e32 v53, 0x3f737871, v16
	v_fmac_f32_e32 v108, 0xbf737871, v16
	;; [unrolled: 1-line block ×3, first 2 shown]
	v_add_f32_e32 v44, v119, v44
	v_fmac_f32_e32 v53, 0xbf167918, v13
	v_fmac_f32_e32 v108, 0x3f167918, v13
	;; [unrolled: 1-line block ×3, first 2 shown]
	s_mov_b32 s1, 0xbf167918
	v_mul_f32_e32 v13, 0x3f4f1bbd, v104
	v_fmac_f32_e32 v53, 0x3e9e377a, v44
	v_fmac_f32_e32 v108, 0x3e9e377a, v44
	v_mul_f32_e32 v44, 0xbf737871, v109
	v_fmac_f32_e32 v118, 0x3e9e377a, v88
	v_fma_f32 v13, v103, s1, -v13
	v_fmac_f32_e32 v44, 0x3e9e377a, v110
	s_mov_b32 s0, 0xbf737871
	v_mul_f32_e32 v107, 0x3e9e377a, v107
	v_sub_f32_e32 v14, v113, v14
	v_add_f32_e32 v16, v118, v13
	v_fma_f32 v107, v114, s0, -v107
	ds_write2_b32 v59, v16, v14 offset0:36 offset1:45
	v_sub_f32_e32 v14, v120, v96
	v_sub_f32_e32 v16, v53, v44
	ds_write2_b32 v59, v14, v16 offset0:54 offset1:63
	v_sub_f32_e32 v14, v108, v107
	v_sub_f32_e32 v13, v118, v13
	ds_write2_b32 v59, v14, v13 offset0:72 offset1:81
	v_sub_f32_e32 v14, v56, v123
	v_add_f32_e32 v15, v15, v124
	v_add_f32_e32 v56, v11, v9
	;; [unrolled: 1-line block ×3, first 2 shown]
	v_fma_f32 v56, -0.5, v56, v10
	v_add_f32_e32 v109, v53, v44
	v_sub_f32_e32 v13, v100, v125
	v_add_f32_e32 v15, v15, v58
	v_add_f32_e32 v53, v10, v99
	v_mov_b32_e32 v58, v56
	v_sub_f32_e32 v16, v99, v11
	v_sub_f32_e32 v44, v45, v9
	v_add_f32_e32 v53, v53, v11
	v_fmac_f32_e32 v58, 0xbf737871, v13
	v_add_f32_e32 v16, v16, v44
	v_mul_f32_e32 v44, 0xbf167918, v106
	v_add_f32_e32 v53, v53, v9
	v_fmac_f32_e32 v58, 0xbf167918, v14
	v_add_f32_e32 v110, v108, v107
	v_fmac_f32_e32 v44, 0x3f4f1bbd, v112
	;; [unrolled: 2-line block ×3, first 2 shown]
	ds_write2_b32 v59, v109, v110 offset0:18 offset1:27
	v_add_f32_e32 v59, v53, v15
	v_add_f32_e32 v88, v58, v44
	ds_write2_b32 v93, v59, v88 offset1:9
	v_add_f32_e32 v59, v99, v45
	v_fmac_f32_e32 v10, -0.5, v59
	v_sub_f32_e32 v11, v11, v99
	v_sub_f32_e32 v9, v9, v45
	v_add_f32_e32 v9, v11, v9
	v_mov_b32_e32 v11, v10
	v_fmac_f32_e32 v11, 0x3f737871, v14
	v_fmac_f32_e32 v10, 0xbf737871, v14
	;; [unrolled: 1-line block ×6, first 2 shown]
	v_mul_f32_e32 v13, 0x3f4f1bbd, v111
	v_fmac_f32_e32 v11, 0x3e9e377a, v9
	v_fmac_f32_e32 v10, 0x3e9e377a, v9
	v_mul_f32_e32 v9, 0xbf737871, v57
	v_fmac_f32_e32 v56, 0x3e9e377a, v16
	v_fma_f32 v13, v105, s1, -v13
	v_fmac_f32_e32 v9, 0x3e9e377a, v54
	v_mul_f32_e32 v45, 0x3e9e377a, v98
	v_sub_f32_e32 v14, v53, v15
	v_add_f32_e32 v15, v56, v13
	v_fma_f32 v45, v97, s0, -v45
	v_add_f32_e32 v54, v11, v9
	ds_write2_b32 v93, v15, v14 offset0:36 offset1:45
	v_sub_f32_e32 v14, v58, v44
	v_sub_f32_e32 v9, v11, v9
	v_add_f32_e32 v57, v10, v45
	ds_write2_b32 v93, v14, v9 offset0:54 offset1:63
	v_sub_f32_e32 v9, v10, v45
	v_sub_f32_e32 v10, v56, v13
	ds_write2_b32 v93, v9, v10 offset0:72 offset1:81
	v_sub_f32_e32 v2, v2, v5
	v_sub_f32_e32 v5, v92, v0
	;; [unrolled: 1-line block ×3, first 2 shown]
	v_add_f32_e32 v5, v5, v9
	v_add_f32_e32 v9, v0, v3
	v_fma_f32 v9, -0.5, v9, v94
	v_sub_f32_e32 v8, v95, v8
	v_mov_b32_e32 v10, v9
	v_fmac_f32_e32 v10, 0xbf737871, v8
	v_fmac_f32_e32 v9, 0x3f737871, v8
	;; [unrolled: 1-line block ×6, first 2 shown]
	v_add_f32_e32 v5, v94, v92
	v_add_f32_e32 v11, v92, v6
	v_add_f32_e32 v5, v5, v0
	v_fmac_f32_e32 v94, -0.5, v11
	v_sub_f32_e32 v0, v0, v92
	v_add_f32_e32 v5, v5, v3
	v_sub_f32_e32 v3, v3, v6
	v_add_f32_e32 v0, v0, v3
	v_mov_b32_e32 v3, v94
	v_fmac_f32_e32 v3, 0x3f737871, v2
	v_fmac_f32_e32 v94, 0xbf737871, v2
	;; [unrolled: 1-line block ×6, first 2 shown]
	v_add_f32_e32 v0, v12, v1
	v_add_f32_e32 v0, v0, v4
	v_mul_f32_e32 v1, 0xbf167918, v102
	v_add_f32_e32 v5, v5, v6
	v_add_f32_e32 v0, v0, v7
	v_fmac_f32_e32 v1, 0x3f4f1bbd, v116
	v_mul_f32_e32 v2, 0xbf737871, v117
	v_mul_f32_e32 v4, 0x3e9e377a, v91
	;; [unrolled: 1-line block ×3, first 2 shown]
	v_fmac_f32_e32 v2, 0x3e9e377a, v55
	v_fma_f32 v4, v90, s0, -v4
	v_fma_f32 v6, v101, s1, -v6
	v_add_f32_e32 v7, v5, v0
	v_sub_f32_e32 v0, v5, v0
	v_add_f32_e32 v5, v10, v1
	s_movk_i32 s0, 0x5a
	ds_write2_b32 v93, v54, v57 offset0:18 offset1:27
	v_sub_f32_e32 v1, v10, v1
	v_add_f32_e32 v8, v3, v2
	v_sub_f32_e32 v2, v3, v2
	v_add_f32_e32 v3, v94, v4
	;; [unrolled: 2-line block ×3, first 2 shown]
	v_sub_f32_e32 v6, v9, v6
	ds_write2_b32 v89, v7, v5 offset1:9
	ds_write2_b32 v89, v8, v3 offset0:18 offset1:27
	ds_write2_b32 v89, v10, v0 offset0:36 offset1:45
	ds_write2_b32 v89, v1, v2 offset0:54 offset1:63
	ds_write2_b32 v89, v4, v6 offset0:72 offset1:81
	v_add_u32_e32 v0, 0xffffffa6, v62
	v_cmp_gt_u32_e64 s[0:1], s0, v62
	v_cndmask_b32_e64 v89, v0, v62, s[0:1]
	v_mul_i32_i24_e32 v15, 5, v89
	v_mov_b32_e32 v16, 0
	v_lshlrev_b64 v[0:1], 3, v[15:16]
	v_mov_b32_e32 v2, s9
	v_add_co_u32_e64 v44, s[0:1], s8, v0
	v_addc_co_u32_e64 v45, s[0:1], v2, v1, s[0:1]
	s_waitcnt lgkmcnt(0)
	s_barrier
	global_load_dwordx4 v[0:3], v[44:45], off offset:696
	s_movk_i32 s0, 0xb7
	v_mul_lo_u16_sdwa v4, v63, s0 dst_sel:DWORD dst_unused:UNUSED_PAD src0_sel:BYTE_0 src1_sel:DWORD
	v_lshrrev_b16_e32 v57, 14, v4
	v_mul_lo_u16_e32 v4, 0x5a, v57
	v_sub_u16_e32 v59, v63, v4
	v_mov_b32_e32 v4, 5
	v_mul_u32_u24_sdwa v4, v59, v4 dst_sel:DWORD dst_unused:UNUSED_PAD src0_sel:BYTE_0 src1_sel:DWORD
	v_lshlrev_b32_e32 v90, 3, v4
	s_movk_i32 s0, 0x2d83
	global_load_dwordx4 v[4:7], v90, s[8:9] offset:696
	v_mul_u32_u24_sdwa v8, v64, s0 dst_sel:DWORD dst_unused:UNUSED_PAD src0_sel:WORD_0 src1_sel:DWORD
	v_lshrrev_b32_e32 v58, 20, v8
	v_mul_lo_u16_e32 v8, 0x5a, v58
	v_sub_u16_e32 v88, v64, v8
	v_mul_u32_u24_e32 v8, 5, v88
	v_lshlrev_b32_e32 v91, 3, v8
	global_load_dwordx4 v[8:11], v91, s[8:9] offset:696
	v_mul_u32_u24_sdwa v12, v65, s0 dst_sel:DWORD dst_unused:UNUSED_PAD src0_sel:WORD_0 src1_sel:DWORD
	v_lshrrev_b32_e32 v55, 20, v12
	v_mul_lo_u16_e32 v12, 0x5a, v55
	v_sub_u16_e32 v56, v65, v12
	v_mul_u32_u24_e32 v12, 5, v56
	v_lshlrev_b32_e32 v119, 3, v12
	;; [unrolled: 7-line block ×3, first 2 shown]
	global_load_dwordx4 v[93:96], v120, s[8:9] offset:696
	global_load_dwordx4 v[97:100], v[44:45], off offset:712
	global_load_dwordx4 v[101:104], v90, s[8:9] offset:712
	global_load_dwordx4 v[105:108], v91, s[8:9] offset:712
	ds_read_b32 v113, v86
	ds_read2_b32 v[117:118], v68 offset0:56 offset1:164
	global_load_dwordx4 v[109:112], v119, s[8:9] offset:712
	s_movk_i32 s0, 0x59
	v_cmp_lt_u32_e64 s[0:1], s0, v62
	ds_read_b32 v92, v85
	s_waitcnt vmcnt(8) lgkmcnt(2)
	v_mul_f32_e32 v114, v113, v1
	v_fma_f32 v121, v52, v0, -v114
	v_mul_f32_e32 v52, v52, v1
	v_fmac_f32_e32 v52, v113, v0
	s_waitcnt lgkmcnt(1)
	v_mul_f32_e32 v0, v117, v3
	global_load_dwordx4 v[113:116], v120, s[8:9] offset:712
	v_fma_f32 v122, v42, v2, -v0
	ds_read2_b32 v[0:1], v47 offset0:136 offset1:244
	v_mul_f32_e32 v42, v42, v3
	v_fmac_f32_e32 v42, v117, v2
	global_load_dwordx2 v[2:3], v[44:45], off offset:728
	s_waitcnt vmcnt(9)
	v_mul_f32_e32 v44, v118, v7
	v_mul_f32_e32 v123, v43, v7
	v_fma_f32 v117, v43, v6, -v44
	v_fmac_f32_e32 v123, v118, v6
	s_waitcnt lgkmcnt(0)
	v_mul_f32_e32 v6, v0, v5
	v_mul_f32_e32 v124, v40, v5
	v_fma_f32 v118, v40, v4, -v6
	v_fmac_f32_e32 v124, v0, v4
	global_load_dwordx2 v[4:5], v90, s[8:9] offset:728
	ds_read2_b32 v[6:7], v76 offset0:16 offset1:124
	s_waitcnt vmcnt(9)
	v_mul_f32_e32 v0, v1, v9
	v_mul_f32_e32 v125, v41, v9
	v_fma_f32 v90, v41, v8, -v0
	v_fmac_f32_e32 v125, v1, v8
	global_load_dwordx2 v[0:1], v91, s[8:9] offset:728
	s_waitcnt lgkmcnt(0)
	v_mul_f32_e32 v8, v6, v11
	v_fma_f32 v91, v38, v10, -v8
	global_load_dwordx2 v[8:9], v119, s[8:9] offset:728
	global_load_dwordx2 v[40:41], v120, s[8:9] offset:728
	v_mul_f32_e32 v38, v38, v11
	v_fmac_f32_e32 v38, v6, v10
	ds_read2_b32 v[10:11], v48 offset0:96 offset1:204
	s_waitcnt vmcnt(11)
	v_mul_f32_e32 v6, v7, v15
	v_fma_f32 v119, v39, v14, -v6
	v_mul_f32_e32 v15, v39, v15
	v_fmac_f32_e32 v15, v7, v14
	s_waitcnt lgkmcnt(0)
	v_mul_f32_e32 v6, v10, v13
	v_fma_f32 v39, v33, v12, -v6
	ds_read2_b32 v[6:7], v81 offset0:104 offset1:212
	v_mul_f32_e32 v120, v33, v13
	v_fmac_f32_e32 v120, v10, v12
	s_waitcnt vmcnt(10)
	v_mul_f32_e32 v10, v11, v94
	v_fma_f32 v126, v34, v93, -v10
	v_mul_f32_e32 v34, v34, v94
	s_waitcnt lgkmcnt(0)
	v_mul_f32_e32 v10, v6, v96
	v_fmac_f32_e32 v34, v11, v93
	v_fma_f32 v93, v31, v95, -v10
	ds_read2_b32 v[10:11], v67 offset0:112 offset1:220
	v_mul_f32_e32 v94, v31, v96
	v_fmac_f32_e32 v94, v6, v95
	s_waitcnt vmcnt(9)
	v_mul_f32_e32 v6, v7, v98
	v_fma_f32 v12, v32, v97, -v6
	v_mul_f32_e32 v13, v32, v98
	s_waitcnt lgkmcnt(0)
	v_mul_f32_e32 v6, v10, v100
	v_fmac_f32_e32 v13, v7, v97
	;; [unrolled: 11-line block ×6, first 2 shown]
	v_fma_f32 v101, v21, v115, -v6
	ds_read2_b32 v[6:7], v71 offset0:120 offset1:228
	v_mul_f32_e32 v102, v21, v116
	v_fmac_f32_e32 v102, v10, v115
	s_waitcnt vmcnt(4)
	v_mul_f32_e32 v10, v11, v3
	v_mul_f32_e32 v21, v22, v3
	v_fma_f32 v10, v22, v2, -v10
	v_fmac_f32_e32 v21, v11, v2
	s_waitcnt vmcnt(3) lgkmcnt(0)
	v_mul_f32_e32 v2, v6, v5
	v_fma_f32 v11, v19, v4, -v2
	ds_read2_b32 v[2:3], v77 offset0:80 offset1:188
	v_mul_f32_e32 v5, v19, v5
	v_fmac_f32_e32 v5, v6, v4
	s_waitcnt vmcnt(2)
	v_mul_f32_e32 v4, v7, v1
	v_mul_f32_e32 v1, v20, v1
	v_fma_f32 v4, v20, v0, -v4
	v_fmac_f32_e32 v1, v7, v0
	s_waitcnt vmcnt(1) lgkmcnt(0)
	v_mul_f32_e32 v0, v2, v9
	v_mul_f32_e32 v6, v17, v9
	v_fma_f32 v0, v17, v8, -v0
	v_fmac_f32_e32 v6, v2, v8
	s_waitcnt vmcnt(0)
	v_mul_f32_e32 v7, v18, v41
	v_add_f32_e32 v8, v122, v14
	v_mul_f32_e32 v2, v3, v41
	v_fmac_f32_e32 v7, v3, v40
	v_add_f32_e32 v3, v51, v122
	v_fmac_f32_e32 v51, -0.5, v8
	v_add_f32_e32 v8, v121, v12
	v_add_f32_e32 v9, v12, v10
	;; [unrolled: 1-line block ×3, first 2 shown]
	v_fmac_f32_e32 v121, -0.5, v9
	v_add_f32_e32 v9, v52, v13
	v_fmac_f32_e32 v52, -0.5, v17
	v_add_f32_e32 v8, v8, v10
	v_sub_f32_e32 v10, v12, v10
	v_mov_b32_e32 v12, 0x870
	v_sub_f32_e32 v13, v13, v21
	v_fma_f32 v2, v18, v40, -v2
	v_cndmask_b32_e64 v12, 0, v12, s[0:1]
	v_lshlrev_b32_e32 v17, 2, v89
	v_add_f32_e32 v3, v3, v14
	v_mov_b32_e32 v18, v121
	v_mov_b32_e32 v19, v52
	v_fmac_f32_e32 v121, 0xbf5db3d7, v13
	v_add3_u32 v40, 0, v12, v17
	v_sub_f32_e32 v12, v42, v29
	v_fmac_f32_e32 v19, 0xbf5db3d7, v10
	v_add_f32_e32 v22, v3, v8
	v_fmac_f32_e32 v52, 0x3f5db3d7, v10
	v_sub_f32_e32 v3, v3, v8
	v_mul_f32_e32 v8, -0.5, v121
	v_mov_b32_e32 v17, v51
	v_fmac_f32_e32 v18, 0x3f5db3d7, v13
	v_mul_f32_e32 v20, 0x3f5db3d7, v19
	v_fmac_f32_e32 v51, 0xbf5db3d7, v12
	v_fmac_f32_e32 v8, 0x3f5db3d7, v52
	;; [unrolled: 1-line block ×3, first 2 shown]
	v_fmac_f32_e32 v20, 0.5, v18
	v_add_f32_e32 v10, v51, v8
	v_add_u32_e32 v105, 0x200, v40
	ds_read_b32 v41, v61
	ds_read_b32 v89, v69
	;; [unrolled: 1-line block ×4, first 2 shown]
	s_waitcnt lgkmcnt(0)
	s_barrier
	ds_write2_b32 v105, v10, v3 offset0:52 offset1:142
	v_sub_f32_e32 v3, v17, v20
	v_sub_f32_e32 v8, v51, v8
	v_add_u32_e32 v10, 0x400, v40
	ds_write2_b32 v10, v3, v8 offset0:104 offset1:194
	v_add_f32_e32 v8, v117, v95
	v_add_f32_e32 v12, v30, v11
	;; [unrolled: 1-line block ×3, first 2 shown]
	v_fmac_f32_e32 v50, -0.5, v8
	v_add_f32_e32 v8, v118, v30
	v_fmac_f32_e32 v118, -0.5, v12
	v_add_f32_e32 v12, v27, v5
	v_add_f32_e32 v32, v17, v20
	;; [unrolled: 1-line block ×3, first 2 shown]
	v_fmac_f32_e32 v124, -0.5, v12
	v_sub_f32_e32 v17, v27, v5
	v_add_f32_e32 v8, v8, v11
	v_sub_f32_e32 v11, v30, v11
	v_lshlrev_b32_sdwa v12, v87, v59 dst_sel:DWORD dst_unused:UNUSED_PAD src0_sel:DWORD src1_sel:BYTE_0
	v_mul_u32_u24_e32 v13, 0x870, v57
	v_add_f32_e32 v3, v3, v95
	v_mov_b32_e32 v59, v118
	v_mov_b32_e32 v87, v124
	v_fmac_f32_e32 v118, 0xbf5db3d7, v17
	ds_write2_b32 v40, v22, v32 offset1:90
	v_add3_u32 v57, 0, v13, v12
	v_sub_f32_e32 v12, v123, v96
	v_fmac_f32_e32 v87, 0xbf5db3d7, v11
	v_add_f32_e32 v22, v3, v8
	v_fmac_f32_e32 v124, 0x3f5db3d7, v11
	v_sub_f32_e32 v3, v3, v8
	v_mul_f32_e32 v8, -0.5, v118
	v_mov_b32_e32 v13, v50
	v_fmac_f32_e32 v59, 0x3f5db3d7, v17
	v_mul_f32_e32 v20, 0x3f5db3d7, v87
	v_fmac_f32_e32 v50, 0xbf5db3d7, v12
	v_fmac_f32_e32 v8, 0x3f5db3d7, v124
	;; [unrolled: 1-line block ×3, first 2 shown]
	v_fmac_f32_e32 v20, 0.5, v59
	v_add_f32_e32 v11, v50, v8
	v_add_u32_e32 v106, 0x200, v57
	ds_write2_b32 v106, v11, v3 offset0:52 offset1:142
	v_sub_f32_e32 v3, v13, v20
	v_sub_f32_e32 v8, v50, v8
	v_add_u32_e32 v50, 0x400, v57
	ds_write2_b32 v50, v3, v8 offset0:104 offset1:194
	v_add_f32_e32 v8, v91, v97
	v_add_f32_e32 v11, v31, v4
	;; [unrolled: 1-line block ×3, first 2 shown]
	v_fmac_f32_e32 v49, -0.5, v8
	v_add_f32_e32 v8, v90, v31
	v_fmac_f32_e32 v90, -0.5, v11
	v_add_f32_e32 v11, v28, v1
	v_add_f32_e32 v27, v13, v20
	;; [unrolled: 1-line block ×3, first 2 shown]
	v_fmac_f32_e32 v125, -0.5, v11
	v_sub_f32_e32 v13, v28, v1
	v_add_f32_e32 v8, v8, v4
	v_sub_f32_e32 v4, v31, v4
	v_mul_u32_u24_e32 v11, 0x870, v58
	v_lshlrev_b32_e32 v12, 2, v88
	v_mov_b32_e32 v88, v90
	v_mov_b32_e32 v108, v125
	v_fmac_f32_e32 v90, 0xbf5db3d7, v13
	v_add3_u32 v58, 0, v11, v12
	v_sub_f32_e32 v11, v38, v98
	v_fmac_f32_e32 v108, 0xbf5db3d7, v4
	v_fmac_f32_e32 v125, 0x3f5db3d7, v4
	v_mul_f32_e32 v4, -0.5, v90
	v_add_f32_e32 v3, v3, v97
	v_mov_b32_e32 v12, v49
	v_fmac_f32_e32 v88, 0x3f5db3d7, v13
	v_mul_f32_e32 v17, 0x3f5db3d7, v108
	v_fmac_f32_e32 v49, 0xbf5db3d7, v11
	v_fmac_f32_e32 v4, 0x3f5db3d7, v125
	;; [unrolled: 1-line block ×3, first 2 shown]
	v_fmac_f32_e32 v17, 0.5, v88
	v_add_f32_e32 v20, v3, v8
	v_sub_f32_e32 v3, v3, v8
	v_add_f32_e32 v8, v49, v4
	v_add_u32_e32 v109, 0x200, v58
	ds_write2_b32 v57, v22, v27 offset1:90
	ds_write2_b32 v109, v8, v3 offset0:52 offset1:142
	v_sub_f32_e32 v3, v12, v17
	v_sub_f32_e32 v4, v49, v4
	v_add_u32_e32 v8, 0x400, v58
	ds_write2_b32 v8, v3, v4 offset0:104 offset1:194
	v_add_f32_e32 v4, v119, v99
	v_add_f32_e32 v11, v25, v0
	;; [unrolled: 1-line block ×3, first 2 shown]
	v_fmac_f32_e32 v46, -0.5, v4
	v_add_f32_e32 v4, v39, v25
	v_fmac_f32_e32 v39, -0.5, v11
	v_add_f32_e32 v11, v23, v6
	v_add_f32_e32 v110, v120, v23
	v_fmac_f32_e32 v120, -0.5, v11
	v_sub_f32_e32 v13, v23, v6
	v_add_f32_e32 v22, v12, v17
	v_add_f32_e32 v4, v4, v0
	v_sub_f32_e32 v0, v25, v0
	v_mul_u32_u24_e32 v11, 0x870, v55
	v_lshlrev_b32_e32 v12, 2, v56
	v_add_f32_e32 v3, v3, v99
	v_mov_b32_e32 v111, v39
	v_mov_b32_e32 v112, v120
	v_fmac_f32_e32 v39, 0xbf5db3d7, v13
	ds_write2_b32 v58, v20, v22 offset1:90
	v_add3_u32 v56, 0, v11, v12
	v_sub_f32_e32 v11, v15, v100
	v_fmac_f32_e32 v112, 0xbf5db3d7, v0
	v_add_f32_e32 v20, v3, v4
	v_fmac_f32_e32 v120, 0x3f5db3d7, v0
	v_sub_f32_e32 v0, v3, v4
	v_mul_f32_e32 v3, -0.5, v39
	v_mov_b32_e32 v12, v46
	v_fmac_f32_e32 v111, 0x3f5db3d7, v13
	v_mul_f32_e32 v17, 0x3f5db3d7, v112
	v_fmac_f32_e32 v46, 0xbf5db3d7, v11
	v_fmac_f32_e32 v3, 0x3f5db3d7, v120
	;; [unrolled: 1-line block ×3, first 2 shown]
	v_fmac_f32_e32 v17, 0.5, v111
	v_add_f32_e32 v4, v46, v3
	v_add_u32_e32 v113, 0x200, v56
	ds_write2_b32 v113, v4, v0 offset0:52 offset1:142
	v_sub_f32_e32 v0, v12, v17
	v_sub_f32_e32 v3, v46, v3
	v_add_u32_e32 v114, 0x400, v56
	ds_write2_b32 v114, v0, v3 offset0:104 offset1:194
	v_add_f32_e32 v3, v93, v101
	v_add_f32_e32 v4, v26, v2
	;; [unrolled: 1-line block ×3, first 2 shown]
	v_fmac_f32_e32 v35, -0.5, v3
	v_add_f32_e32 v3, v126, v26
	v_fmac_f32_e32 v126, -0.5, v4
	v_add_f32_e32 v4, v24, v7
	v_add_f32_e32 v22, v12, v17
	v_add_f32_e32 v115, v34, v24
	v_fmac_f32_e32 v34, -0.5, v4
	v_sub_f32_e32 v12, v24, v7
	v_add_f32_e32 v3, v3, v2
	v_sub_f32_e32 v2, v26, v2
	v_mul_u32_u24_e32 v4, 0x870, v53
	v_lshlrev_b32_e32 v11, 2, v54
	v_mov_b32_e32 v127, v126
	v_mov_b32_e32 v128, v34
	v_fmac_f32_e32 v126, 0xbf5db3d7, v12
	v_add3_u32 v116, 0, v4, v11
	v_sub_f32_e32 v4, v94, v102
	v_fmac_f32_e32 v128, 0xbf5db3d7, v2
	v_fmac_f32_e32 v34, 0x3f5db3d7, v2
	v_mul_f32_e32 v2, -0.5, v126
	v_add_f32_e32 v0, v0, v101
	v_mov_b32_e32 v11, v35
	v_fmac_f32_e32 v127, 0x3f5db3d7, v12
	v_mul_f32_e32 v13, 0x3f5db3d7, v128
	v_fmac_f32_e32 v35, 0xbf5db3d7, v4
	v_fmac_f32_e32 v2, 0x3f5db3d7, v34
	;; [unrolled: 1-line block ×3, first 2 shown]
	v_fmac_f32_e32 v13, 0.5, v127
	v_add_f32_e32 v17, v0, v3
	v_sub_f32_e32 v0, v0, v3
	v_add_f32_e32 v3, v35, v2
	v_add_u32_e32 v129, 0x200, v116
	ds_write2_b32 v56, v20, v22 offset1:90
	ds_write2_b32 v129, v3, v0 offset0:52 offset1:142
	v_sub_f32_e32 v0, v11, v13
	v_sub_f32_e32 v2, v35, v2
	v_add_u32_e32 v3, 0x400, v116
	ds_write2_b32 v3, v0, v2 offset0:104 offset1:194
	v_add_f32_e32 v2, v42, v29
	v_add_f32_e32 v0, v41, v42
	v_fmac_f32_e32 v41, -0.5, v2
	v_sub_f32_e32 v2, v122, v14
	v_mov_b32_e32 v42, v41
	v_fmac_f32_e32 v42, 0xbf5db3d7, v2
	v_fmac_f32_e32 v41, 0x3f5db3d7, v2
	v_mul_f32_e32 v2, -0.5, v52
	v_add_f32_e32 v20, v11, v13
	v_add_f32_e32 v0, v0, v29
	;; [unrolled: 1-line block ×3, first 2 shown]
	v_mul_f32_e32 v35, 0xbf5db3d7, v18
	v_fmac_f32_e32 v2, 0xbf5db3d7, v121
	ds_write2_b32 v116, v17, v20 offset1:90
	v_fmac_f32_e32 v35, 0.5, v19
	s_waitcnt lgkmcnt(0)
	s_barrier
	ds_read_b32 v54, v86
	ds_read_b32 v4, v85
	;; [unrolled: 1-line block ×6, first 2 shown]
	ds_read2_b32 v[21:22], v68 offset0:56 offset1:164
	ds_read2_b32 v[13:14], v81 offset0:104 offset1:212
	;; [unrolled: 1-line block ×12, first 2 shown]
	v_add_f32_e32 v84, v0, v9
	v_sub_f32_e32 v0, v0, v9
	v_add_f32_e32 v9, v41, v2
	s_waitcnt lgkmcnt(0)
	s_barrier
	ds_write2_b32 v105, v9, v0 offset0:52 offset1:142
	v_sub_f32_e32 v0, v42, v35
	v_sub_f32_e32 v2, v41, v2
	ds_write2_b32 v10, v0, v2 offset0:104 offset1:194
	v_add_f32_e32 v2, v123, v96
	v_add_f32_e32 v0, v89, v123
	v_fmac_f32_e32 v89, -0.5, v2
	v_sub_f32_e32 v2, v117, v95
	v_mov_b32_e32 v10, v89
	v_fmac_f32_e32 v10, 0xbf5db3d7, v2
	v_fmac_f32_e32 v89, 0x3f5db3d7, v2
	v_mul_f32_e32 v2, -0.5, v124
	v_add_f32_e32 v0, v0, v96
	v_add_f32_e32 v5, v51, v5
	v_mul_f32_e32 v9, 0xbf5db3d7, v59
	v_fmac_f32_e32 v2, 0xbf5db3d7, v118
	v_add_f32_e32 v85, v42, v35
	v_fmac_f32_e32 v9, 0.5, v87
	v_add_f32_e32 v35, v0, v5
	v_sub_f32_e32 v0, v0, v5
	v_add_f32_e32 v5, v89, v2
	ds_write2_b32 v40, v84, v85 offset1:90
	ds_write2_b32 v106, v5, v0 offset0:52 offset1:142
	v_sub_f32_e32 v0, v10, v9
	v_sub_f32_e32 v2, v89, v2
	ds_write2_b32 v50, v0, v2 offset0:104 offset1:194
	v_add_f32_e32 v2, v38, v98
	v_add_f32_e32 v0, v103, v38
	v_fmac_f32_e32 v103, -0.5, v2
	v_add_f32_e32 v40, v10, v9
	v_sub_f32_e32 v2, v91, v97
	v_mov_b32_e32 v9, v103
	v_fmac_f32_e32 v9, 0xbf5db3d7, v2
	v_fmac_f32_e32 v103, 0x3f5db3d7, v2
	v_mul_f32_e32 v2, -0.5, v125
	v_add_f32_e32 v0, v0, v98
	v_add_f32_e32 v1, v107, v1
	v_mul_f32_e32 v5, 0xbf5db3d7, v88
	v_fmac_f32_e32 v2, 0xbf5db3d7, v90
	v_fmac_f32_e32 v5, 0.5, v108
	v_add_f32_e32 v10, v0, v1
	v_sub_f32_e32 v0, v0, v1
	v_add_f32_e32 v1, v103, v2
	ds_write2_b32 v57, v35, v40 offset1:90
	ds_write2_b32 v109, v1, v0 offset0:52 offset1:142
	v_sub_f32_e32 v0, v9, v5
	v_sub_f32_e32 v1, v103, v2
	ds_write2_b32 v8, v0, v1 offset0:104 offset1:194
	v_add_f32_e32 v1, v15, v100
	v_add_f32_e32 v0, v104, v15
	v_fmac_f32_e32 v104, -0.5, v1
	v_add_f32_e32 v35, v9, v5
	v_sub_f32_e32 v1, v119, v99
	v_add_f32_e32 v2, v110, v6
	v_mul_f32_e32 v5, 0xbf5db3d7, v111
	v_mov_b32_e32 v6, v104
	v_add_f32_e32 v0, v0, v100
	v_fmac_f32_e32 v5, 0.5, v112
	v_fmac_f32_e32 v6, 0xbf5db3d7, v1
	v_add_f32_e32 v8, v0, v2
	v_add_f32_e32 v9, v6, v5
	ds_write2_b32 v58, v10, v35 offset1:90
	ds_write2_b32 v56, v8, v9 offset1:90
	v_add_f32_e32 v8, v94, v102
	v_sub_f32_e32 v0, v0, v2
	v_sub_f32_e32 v2, v6, v5
	v_add_f32_e32 v6, v92, v94
	v_fmac_f32_e32 v92, -0.5, v8
	v_fmac_f32_e32 v104, 0x3f5db3d7, v1
	v_mul_f32_e32 v1, -0.5, v120
	v_sub_f32_e32 v8, v93, v101
	v_mov_b32_e32 v9, v92
	v_fmac_f32_e32 v1, 0xbf5db3d7, v39
	v_fmac_f32_e32 v9, 0xbf5db3d7, v8
	v_fmac_f32_e32 v92, 0x3f5db3d7, v8
	v_mul_f32_e32 v8, 0xbf5db3d7, v127
	v_mul_f32_e32 v10, -0.5, v34
	v_add_f32_e32 v5, v104, v1
	v_add_f32_e32 v6, v6, v102
	;; [unrolled: 1-line block ×3, first 2 shown]
	v_fmac_f32_e32 v8, 0.5, v128
	v_fmac_f32_e32 v10, 0xbf5db3d7, v126
	s_movk_i32 s0, 0x1000
	v_sub_f32_e32 v1, v104, v1
	v_add_f32_e32 v15, v6, v7
	v_sub_f32_e32 v6, v6, v7
	v_add_f32_e32 v7, v9, v8
	;; [unrolled: 2-line block ×3, first 2 shown]
	v_sub_f32_e32 v10, v92, v10
	ds_write2_b32 v113, v5, v0 offset0:52 offset1:142
	ds_write2_b32 v114, v2, v1 offset0:104 offset1:194
	ds_write2_b32 v116, v15, v7 offset1:90
	ds_write2_b32 v129, v9, v6 offset0:52 offset1:142
	ds_write2_b32 v3, v8, v10 offset0:104 offset1:194
	s_waitcnt lgkmcnt(0)
	s_barrier
	s_and_saveexec_b64 s[4:5], vcc
	s_cbranch_execz .LBB0_15
; %bb.14:
	v_mul_i32_i24_e32 v15, 5, v66
	v_lshlrev_b64 v[0:1], 3, v[15:16]
	v_mov_b32_e32 v51, s9
	v_add_co_u32_e32 v7, vcc, s8, v0
	v_addc_co_u32_e32 v8, vcc, v51, v1, vcc
	v_add_co_u32_e32 v5, vcc, 0x10c8, v7
	v_addc_co_u32_e32 v6, vcc, 0, v8, vcc
	global_load_dwordx2 v[9:10], v[5:6], off offset:32
	global_load_dwordx4 v[0:3], v[5:6], off offset:16
	v_add_co_u32_e32 v5, vcc, 0x1000, v7
	v_addc_co_u32_e32 v6, vcc, 0, v8, vcc
	v_mul_i32_i24_e32 v15, 5, v65
	global_load_dwordx4 v[5:8], v[5:6], off offset:200
	v_lshlrev_b64 v[65:66], 3, v[15:16]
	s_movk_i32 s1, 0x10c8
	v_add_co_u32_e32 v15, vcc, s8, v65
	ds_read2_b32 v[34:35], v81 offset0:104 offset1:212
	ds_read2_b32 v[41:42], v79 offset0:32 offset1:140
	;; [unrolled: 1-line block ×4, first 2 shown]
	v_addc_co_u32_e32 v48, vcc, v51, v66, vcc
	v_add_co_u32_e32 v65, vcc, s1, v15
	v_addc_co_u32_e32 v66, vcc, 0, v48, vcc
	v_add_co_u32_e32 v86, vcc, s0, v15
	v_addc_co_u32_e32 v87, vcc, 0, v48, vcc
	v_sub_u32_e32 v40, 0, v80
	v_sub_u32_e32 v50, 0, v82
	v_sub_u32_e32 v56, 0, v83
	global_load_dwordx4 v[78:81], v[86:87], off offset:200
	global_load_dwordx2 v[90:91], v[65:66], off offset:32
	global_load_dwordx4 v[82:85], v[65:66], off offset:16
	ds_read2_b32 v[65:66], v77 offset0:80 offset1:188
	v_add_u32_e32 v15, v74, v50
	ds_read_b32 v15, v15
	ds_read2_b32 v[92:93], v75 offset0:72 offset1:180
	s_waitcnt vmcnt(5) lgkmcnt(2)
	v_mul_f32_e32 v59, v9, v66
	s_waitcnt vmcnt(4)
	v_mul_f32_e32 v48, v3, v41
	v_mul_f32_e32 v41, v2, v41
	;; [unrolled: 1-line block ×5, first 2 shown]
	v_fma_f32 v48, v11, v2, -v48
	s_waitcnt vmcnt(3)
	v_mul_f32_e32 v2, v7, v34
	v_fmac_f32_e32 v41, v11, v3
	v_fma_f32 v11, v26, v0, -v50
	v_fmac_f32_e32 v58, v26, v1
	v_fmac_f32_e32 v59, v24, v10
	v_mul_f32_e32 v0, v5, v39
	v_mul_f32_e32 v66, v8, v34
	;; [unrolled: 1-line block ×3, first 2 shown]
	v_fma_f32 v9, v24, v9, -v52
	v_fmac_f32_e32 v2, v13, v8
	v_fmac_f32_e32 v0, v18, v6
	v_add_f32_e32 v6, v58, v59
	v_fma_f32 v7, v13, v7, -v66
	v_fma_f32 v8, v18, v5, -v3
	v_add_f32_e32 v1, v11, v9
	v_add_f32_e32 v13, v2, v41
	v_fma_f32 v6, -0.5, v6, v0
	v_sub_f32_e32 v5, v11, v9
	v_fma_f32 v18, -0.5, v1, v8
	v_add_f32_e32 v0, v0, v58
	s_waitcnt lgkmcnt(1)
	v_fma_f32 v13, -0.5, v13, v15
	v_mov_b32_e32 v24, v6
	v_sub_f32_e32 v3, v58, v59
	v_sub_f32_e32 v10, v7, v48
	v_add_f32_e32 v1, v2, v15
	v_mov_b32_e32 v15, v18
	v_mov_b32_e32 v34, v13
	v_fmac_f32_e32 v24, 0x3f5db3d7, v5
	v_add_f32_e32 v50, v0, v59
	v_add_f32_e32 v0, v7, v48
	v_fmac_f32_e32 v15, 0xbf5db3d7, v3
	v_fmac_f32_e32 v13, 0xbf5db3d7, v10
	;; [unrolled: 1-line block ×3, first 2 shown]
	v_mul_f32_e32 v10, -0.5, v24
	v_fma_f32 v52, -0.5, v0, v4
	v_fmac_f32_e32 v18, 0x3f5db3d7, v3
	v_add_f32_e32 v26, v41, v1
	v_fmac_f32_e32 v10, 0xbf5db3d7, v15
	v_sub_f32_e32 v2, v2, v41
	v_mov_b32_e32 v41, v52
	v_mul_f32_e32 v15, -0.5, v15
	v_fmac_f32_e32 v6, 0xbf5db3d7, v5
	v_mul_f32_e32 v39, 0xbf5db3d7, v18
	v_fmac_f32_e32 v41, 0xbf5db3d7, v2
	v_fmac_f32_e32 v15, 0x3f5db3d7, v24
	v_fmac_f32_e32 v39, 0.5, v6
	v_sub_f32_e32 v0, v41, v15
	v_mul_f32_e32 v24, 0x3f5db3d7, v6
	v_add_f32_e32 v6, v41, v15
	s_waitcnt vmcnt(0) lgkmcnt(0)
	v_mul_f32_e32 v15, v85, v93
	v_sub_f32_e32 v1, v34, v10
	v_add_f32_e32 v4, v4, v7
	v_add_f32_e32 v7, v34, v10
	v_fma_f32 v34, v44, v84, -v15
	v_add_u32_e32 v15, v73, v40
	v_sub_f32_e32 v5, v26, v50
	v_fmac_f32_e32 v24, 0.5, v18
	v_add_f32_e32 v18, v4, v48
	v_add_f32_e32 v4, v8, v11
	;; [unrolled: 1-line block ×3, first 2 shown]
	ds_read_b32 v26, v15
	v_mul_i32_i24_e32 v15, 5, v64
	v_sub_f32_e32 v3, v13, v39
	v_add_f32_e32 v48, v4, v9
	v_add_f32_e32 v9, v13, v39
	v_lshlrev_b64 v[39:40], 3, v[15:16]
	v_sub_f32_e32 v4, v18, v48
	v_add_co_u32_e32 v15, vcc, s8, v39
	v_add_f32_e32 v10, v18, v48
	v_addc_co_u32_e32 v18, vcc, v51, v40, vcc
	v_add_co_u32_e32 v39, vcc, s1, v15
	v_addc_co_u32_e32 v40, vcc, 0, v18, vcc
	v_add_co_u32_e32 v94, vcc, s0, v15
	v_addc_co_u32_e32 v95, vcc, 0, v18, vcc
	ds_read2_b32 v[58:59], v76 offset0:16 offset1:124
	global_load_dwordx4 v[73:76], v[94:95], off offset:200
	global_load_dwordx2 v[96:97], v[39:40], off offset:32
	global_load_dwordx4 v[86:89], v[39:40], off offset:16
	v_mul_f32_e32 v15, v84, v93
	v_fmac_f32_e32 v15, v44, v85
	v_fmac_f32_e32 v52, 0x3f5db3d7, v2
	s_waitcnt lgkmcnt(0)
	v_mul_f32_e32 v41, v80, v59
	v_fmac_f32_e32 v41, v46, v81
	v_add_f32_e32 v18, v41, v15
	v_fma_f32 v39, -0.5, v18, v26
	v_mul_f32_e32 v18, v79, v38
	v_mul_f32_e32 v13, v81, v59
	v_fma_f32 v44, v17, v78, -v18
	v_mul_f32_e32 v18, v83, v57
	v_fma_f32 v13, v46, v80, -v13
	v_fma_f32 v46, v25, v82, -v18
	v_mul_f32_e32 v18, v91, v65
	v_sub_f32_e32 v2, v52, v24
	v_add_f32_e32 v8, v52, v24
	v_fma_f32 v48, v23, v90, -v18
	v_mul_f32_e32 v52, v82, v57
	v_add_f32_e32 v18, v46, v48
	v_fmac_f32_e32 v52, v25, v83
	v_mul_f32_e32 v25, v90, v65
	v_fma_f32 v50, -0.5, v18, v44
	v_fmac_f32_e32 v25, v23, v91
	v_sub_f32_e32 v23, v52, v25
	v_mov_b32_e32 v57, v50
	v_mul_f32_e32 v38, v78, v38
	v_fmac_f32_e32 v57, 0xbf5db3d7, v23
	v_fmac_f32_e32 v38, v17, v79
	;; [unrolled: 1-line block ×3, first 2 shown]
	v_add_f32_e32 v23, v41, v26
	v_add_f32_e32 v17, v52, v25
	;; [unrolled: 1-line block ×4, first 2 shown]
	v_fma_f32 v64, -0.5, v17, v38
	v_add_f32_e32 v38, v23, v25
	v_add_f32_e32 v23, v13, v34
	v_sub_f32_e32 v59, v46, v48
	v_fma_f32 v52, -0.5, v23, v33
	v_mov_b32_e32 v17, v64
	v_fmac_f32_e32 v64, 0xbf5db3d7, v59
	v_sub_f32_e32 v15, v41, v15
	v_mov_b32_e32 v77, v52
	v_fmac_f32_e32 v77, 0xbf5db3d7, v15
	v_fmac_f32_e32 v52, 0x3f5db3d7, v15
	v_mul_f32_e32 v15, 0x3f5db3d7, v64
	v_fmac_f32_e32 v15, 0.5, v50
	v_fmac_f32_e32 v17, 0x3f5db3d7, v59
	v_sub_f32_e32 v26, v66, v38
	v_sub_f32_e32 v23, v52, v15
	v_add_f32_e32 v41, v66, v38
	v_add_f32_e32 v38, v52, v15
	v_mul_i32_i24_e32 v15, 5, v63
	v_sub_f32_e32 v24, v13, v34
	v_mov_b32_e32 v40, v39
	v_mul_f32_e32 v65, -0.5, v17
	v_add_f32_e32 v13, v33, v13
	v_add_f32_e32 v25, v44, v46
	v_lshlrev_b64 v[15:16], 3, v[15:16]
	v_fmac_f32_e32 v40, 0x3f5db3d7, v24
	v_fmac_f32_e32 v65, 0xbf5db3d7, v57
	v_add_f32_e32 v13, v13, v34
	v_add_f32_e32 v44, v25, v48
	v_sub_f32_e32 v18, v40, v65
	v_sub_f32_e32 v25, v13, v44
	v_add_f32_e32 v34, v40, v65
	v_add_f32_e32 v40, v13, v44
	v_add_co_u32_e32 v13, vcc, s8, v15
	v_addc_co_u32_e32 v44, vcc, v51, v16, vcc
	v_mul_f32_e32 v57, -0.5, v57
	v_add_co_u32_e32 v15, vcc, s1, v13
	v_mul_f32_e32 v59, 0xbf5db3d7, v50
	v_fmac_f32_e32 v57, 0x3f5db3d7, v17
	v_addc_co_u32_e32 v16, vcc, 0, v44, vcc
	s_waitcnt vmcnt(2)
	v_mul_f32_e32 v46, v76, v58
	v_mul_f32_e32 v52, v75, v58
	v_fma_f32 v48, v45, v75, -v46
	v_fmac_f32_e32 v52, v45, v76
	ds_read_b32 v45, v72
	s_waitcnt vmcnt(0)
	v_mul_f32_e32 v75, v88, v92
	v_fmac_f32_e32 v59, 0.5, v64
	v_sub_f32_e32 v17, v77, v57
	v_add_f32_e32 v33, v77, v57
	global_load_dwordx4 v[63:66], v[15:16], off offset:16
	v_mul_f32_e32 v46, v89, v92
	ds_read_b32 v92, v69
	v_fmac_f32_e32 v75, v43, v89
	ds_read2_b32 v[57:58], v47 offset0:136 offset1:244
	ds_read2_b32 v[81:82], v70 offset0:64 offset1:172
	;; [unrolled: 1-line block ×3, first 2 shown]
	v_fma_f32 v50, v43, v88, -v46
	v_add_f32_e32 v43, v52, v75
	s_waitcnt lgkmcnt(4)
	v_fma_f32 v76, -0.5, v43, v45
	v_add_co_u32_e32 v43, vcc, s0, v13
	v_fmac_f32_e32 v39, 0xbf5db3d7, v24
	v_addc_co_u32_e32 v44, vcc, 0, v44, vcc
	s_waitcnt lgkmcnt(2)
	v_mul_f32_e32 v13, v74, v58
	v_sub_f32_e32 v24, v39, v59
	v_add_f32_e32 v39, v39, v59
	global_load_dwordx4 v[69:72], v[43:44], off offset:200
	v_fma_f32 v13, v28, v73, -v13
	v_mul_f32_e32 v73, v73, v58
	global_load_dwordx2 v[58:59], v[15:16], off offset:32
	s_waitcnt lgkmcnt(1)
	v_mul_f32_e32 v43, v87, v82
	v_fma_f32 v47, v32, v86, -v43
	s_waitcnt lgkmcnt(0)
	v_mul_f32_e32 v43, v97, v84
	v_mul_f32_e32 v79, v86, v82
	v_fma_f32 v78, v30, v96, -v43
	v_fmac_f32_e32 v79, v32, v87
	v_mul_f32_e32 v32, v96, v84
	v_fmac_f32_e32 v73, v28, v74
	v_add_f32_e32 v45, v52, v45
	v_add_f32_e32 v43, v47, v78
	v_fmac_f32_e32 v32, v30, v97
	v_add_f32_e32 v82, v75, v45
	v_add_f32_e32 v45, v73, v79
	v_fma_f32 v43, -0.5, v43, v13
	v_sub_f32_e32 v30, v79, v32
	v_add_f32_e32 v15, v79, v32
	v_add_f32_e32 v32, v45, v32
	;; [unrolled: 1-line block ×3, first 2 shown]
	v_mov_b32_e32 v80, v43
	v_sub_f32_e32 v44, v47, v78
	v_fma_f32 v28, -0.5, v15, v73
	v_fmac_f32_e32 v43, 0x3f5db3d7, v30
	v_fma_f32 v93, -0.5, v45, v49
	v_sub_f32_e32 v46, v48, v50
	v_fmac_f32_e32 v80, 0xbf5db3d7, v30
	v_mov_b32_e32 v15, v28
	v_fmac_f32_e32 v28, 0xbf5db3d7, v44
	v_mul_f32_e32 v30, 0xbf5db3d7, v43
	v_sub_f32_e32 v45, v52, v75
	v_mov_b32_e32 v94, v93
	v_mov_b32_e32 v77, v76
	v_fmac_f32_e32 v76, 0xbf5db3d7, v46
	v_fmac_f32_e32 v30, 0.5, v28
	v_fmac_f32_e32 v94, 0xbf5db3d7, v45
	v_fmac_f32_e32 v93, 0x3f5db3d7, v45
	v_add_f32_e32 v45, v49, v48
	v_fmac_f32_e32 v15, 0x3f5db3d7, v44
	v_sub_f32_e32 v44, v76, v30
	v_add_f32_e32 v96, v45, v50
	v_add_f32_e32 v50, v76, v30
	v_mul_u32_u24_e32 v30, 5, v62
	v_lshlrev_b32_e32 v30, 3, v30
	v_add_co_u32_e32 v30, vcc, s8, v30
	v_fmac_f32_e32 v77, 0x3f5db3d7, v46
	v_sub_f32_e32 v46, v82, v32
	v_add_f32_e32 v52, v82, v32
	v_addc_co_u32_e32 v32, vcc, 0, v51, vcc
	v_add_co_u32_e32 v86, vcc, s1, v30
	v_addc_co_u32_e32 v87, vcc, 0, v32, vcc
	v_mul_f32_e32 v74, -0.5, v15
	v_add_co_u32_e32 v88, vcc, s0, v30
	v_fmac_f32_e32 v74, 0xbf5db3d7, v80
	v_add_f32_e32 v13, v13, v47
	v_addc_co_u32_e32 v89, vcc, 0, v32, vcc
	v_sub_f32_e32 v16, v77, v74
	v_mul_f32_e32 v95, -0.5, v80
	v_add_f32_e32 v13, v13, v78
	v_add_f32_e32 v48, v77, v74
	ds_read2_b32 v[84:85], v68 offset0:56 offset1:164
	global_load_dwordx4 v[73:76], v[88:89], off offset:200
	global_load_dwordx2 v[90:91], v[86:87], off offset:32
	global_load_dwordx4 v[77:80], v[86:87], off offset:16
	ds_read2_b32 v[67:68], v67 offset0:112 offset1:220
	v_mul_f32_e32 v28, 0x3f5db3d7, v28
	v_fmac_f32_e32 v28, 0.5, v43
	v_sub_f32_e32 v45, v96, v13
	v_add_f32_e32 v51, v96, v13
	v_sub_f32_e32 v43, v93, v28
	v_add_f32_e32 v49, v93, v28
	s_waitcnt vmcnt(5) lgkmcnt(0)
	v_mul_f32_e32 v28, v66, v68
	v_fma_f32 v82, v20, v65, -v28
	v_mul_f32_e32 v32, v63, v81
	s_waitcnt vmcnt(4)
	v_mul_f32_e32 v13, v72, v85
	v_fma_f32 v13, v22, v71, -v13
	v_mul_f32_e32 v71, v71, v85
	v_fmac_f32_e32 v71, v22, v72
	v_mul_f32_e32 v22, v65, v68
	v_mul_f32_e32 v28, v70, v57
	v_fmac_f32_e32 v22, v20, v66
	v_fma_f32 v66, v27, v69, -v28
	v_mul_f32_e32 v28, v64, v81
	v_fma_f32 v68, v31, v63, -v28
	s_waitcnt vmcnt(3)
	v_mul_f32_e32 v28, v59, v83
	v_fma_f32 v72, v29, v58, -v28
	v_fmac_f32_e32 v32, v31, v64
	v_mul_f32_e32 v31, v58, v83
	v_add_f32_e32 v28, v68, v72
	v_fmac_f32_e32 v31, v29, v59
	v_mul_f32_e32 v57, v69, v57
	v_fma_f32 v85, -0.5, v28, v66
	v_fmac_f32_e32 v57, v27, v70
	v_add_f32_e32 v27, v32, v31
	v_sub_f32_e32 v29, v32, v31
	v_mov_b32_e32 v58, v85
	v_fma_f32 v63, -0.5, v27, v57
	v_add_f32_e32 v20, v71, v22
	v_fmac_f32_e32 v58, 0xbf5db3d7, v29
	v_sub_f32_e32 v59, v68, v72
	v_mov_b32_e32 v27, v63
	v_fmac_f32_e32 v85, 0x3f5db3d7, v29
	v_add_f32_e32 v29, v71, v92
	v_fma_f32 v20, -0.5, v20, v92
	v_fmac_f32_e32 v27, 0x3f5db3d7, v59
	v_add_f32_e32 v69, v22, v29
	v_add_f32_e32 v29, v57, v32
	v_sub_f32_e32 v30, v13, v82
	v_mov_b32_e32 v65, v20
	v_mul_f32_e32 v64, -0.5, v27
	v_fmac_f32_e32 v63, 0xbf5db3d7, v59
	v_mul_f32_e32 v59, 0xbf5db3d7, v85
	v_add_f32_e32 v57, v29, v31
	v_add_f32_e32 v29, v13, v82
	;; [unrolled: 1-line block ×4, first 2 shown]
	v_fmac_f32_e32 v65, 0x3f5db3d7, v30
	v_fmac_f32_e32 v64, 0xbf5db3d7, v58
	;; [unrolled: 1-line block ×3, first 2 shown]
	v_fmac_f32_e32 v59, 0.5, v63
	v_fma_f32 v70, -0.5, v29, v55
	v_add_f32_e32 v13, v13, v82
	v_add_f32_e32 v55, v31, v72
	v_sub_f32_e32 v28, v65, v64
	v_sub_f32_e32 v30, v20, v59
	v_mul_f32_e32 v81, -0.5, v58
	v_sub_f32_e32 v31, v13, v55
	v_add_f32_e32 v58, v65, v64
	v_add_f32_e32 v64, v20, v59
	;; [unrolled: 1-line block ×3, first 2 shown]
	ds_read_b32 v61, v61
	v_sub_f32_e32 v22, v71, v22
	v_mov_b32_e32 v71, v70
	v_sub_f32_e32 v32, v69, v57
	v_fmac_f32_e32 v71, 0xbf5db3d7, v22
	v_fmac_f32_e32 v70, 0x3f5db3d7, v22
	v_mul_f32_e32 v22, 0x3f5db3d7, v63
	v_add_f32_e32 v66, v69, v57
	v_fmac_f32_e32 v22, 0.5, v85
	v_fmac_f32_e32 v81, 0x3f5db3d7, v27
	v_sub_f32_e32 v29, v70, v22
	s_waitcnt vmcnt(2)
	v_mul_f32_e32 v13, v76, v84
	v_mul_f32_e32 v59, v75, v84
	v_fma_f32 v13, v21, v75, -v13
	s_waitcnt vmcnt(0)
	v_mul_f32_e32 v20, v80, v67
	v_fmac_f32_e32 v59, v21, v76
	v_mul_f32_e32 v21, v79, v67
	v_fma_f32 v55, v19, v79, -v20
	v_fmac_f32_e32 v21, v19, v80
	v_add_u32_e32 v19, v60, v56
	ds_read_b32 v19, v19
	v_add_f32_e32 v20, v59, v21
	s_waitcnt lgkmcnt(1)
	v_fma_f32 v67, -0.5, v20, v61
	v_add_f32_e32 v63, v70, v22
	v_sub_f32_e32 v27, v71, v81
	s_waitcnt lgkmcnt(0)
	v_mul_f32_e32 v20, v74, v19
	v_fma_f32 v56, v54, v73, -v20
	v_mul_f32_e32 v20, v78, v35
	v_fma_f32 v68, v14, v77, -v20
	v_mul_f32_e32 v20, v91, v42
	v_mul_f32_e32 v35, v77, v35
	v_fma_f32 v69, v12, v90, -v20
	v_fmac_f32_e32 v35, v14, v78
	v_mul_f32_e32 v14, v90, v42
	v_add_f32_e32 v20, v68, v69
	v_fmac_f32_e32 v14, v12, v91
	v_mul_f32_e32 v19, v73, v19
	v_fma_f32 v70, -0.5, v20, v56
	v_sub_f32_e32 v12, v35, v14
	v_fmac_f32_e32 v19, v54, v74
	v_add_f32_e32 v20, v35, v14
	v_add_f32_e32 v57, v71, v81
	v_mov_b32_e32 v42, v70
	v_sub_f32_e32 v71, v68, v69
	v_fma_f32 v72, -0.5, v20, v19
	v_fmac_f32_e32 v70, 0x3f5db3d7, v12
	v_add_f32_e32 v19, v19, v35
	v_sub_f32_e32 v22, v13, v55
	v_fmac_f32_e32 v42, 0xbf5db3d7, v12
	v_mov_b32_e32 v73, v72
	v_fmac_f32_e32 v72, 0xbf5db3d7, v71
	v_mul_f32_e32 v12, 0xbf5db3d7, v70
	v_add_f32_e32 v14, v19, v14
	v_add_f32_e32 v19, v13, v55
	;; [unrolled: 1-line block ×3, first 2 shown]
	v_fmac_f32_e32 v73, 0x3f5db3d7, v71
	v_fmac_f32_e32 v12, 0.5, v72
	v_mul_f32_e32 v71, 0x3f5db3d7, v72
	v_add_f32_e32 v72, v13, v55
	v_add_f32_e32 v13, v56, v68
	v_mad_u64_u32 v[55:56], s[0:1], s2, v62, 0
	v_mov_b32_e32 v60, v67
	v_fmac_f32_e32 v67, 0xbf5db3d7, v22
	v_fmac_f32_e32 v60, 0x3f5db3d7, v22
	v_sub_f32_e32 v22, v67, v12
	v_add_f32_e32 v68, v67, v12
	v_mov_b32_e32 v12, v56
	v_add_f32_e32 v69, v13, v69
	v_mad_u64_u32 v[12:13], s[0:1], s3, v62, v[12:13]
	v_add_f32_e32 v54, v59, v61
	v_add_f32_e32 v61, v21, v54
	v_fma_f32 v35, -0.5, v19, v53
	v_sub_f32_e32 v21, v59, v21
	v_mov_b32_e32 v56, v12
	v_mov_b32_e32 v13, s13
	v_add_co_u32_e32 v12, vcc, s12, v36
	v_mov_b32_e32 v59, v35
	v_fmac_f32_e32 v35, 0x3f5db3d7, v21
	v_fmac_f32_e32 v71, 0.5, v70
	v_addc_co_u32_e32 v13, vcc, v13, v37, vcc
	v_add_u32_e32 v37, 0x21c, v62
	v_fmac_f32_e32 v59, 0xbf5db3d7, v21
	v_sub_f32_e32 v21, v35, v71
	v_add_f32_e32 v67, v35, v71
	v_lshlrev_b64 v[35:36], 3, v[55:56]
	v_mad_u64_u32 v[55:56], s[0:1], s2, v37, 0
	v_fmac_f32_e32 v95, 0x3f5db3d7, v15
	v_sub_f32_e32 v15, v94, v95
	v_mul_f32_e32 v74, -0.5, v73
	v_sub_f32_e32 v54, v61, v14
	v_add_f32_e32 v70, v61, v14
	v_mov_b32_e32 v14, v56
	v_fmac_f32_e32 v74, 0xbf5db3d7, v42
	v_mul_f32_e32 v42, -0.5, v42
	v_sub_f32_e32 v53, v72, v69
	v_add_f32_e32 v69, v72, v69
	v_mad_u64_u32 v[71:72], s[0:1], s3, v37, v[14:15]
	v_add_u32_e32 v37, 0x438, v62
	v_fmac_f32_e32 v42, 0x3f5db3d7, v73
	v_mad_u64_u32 v[72:73], s[0:1], s2, v37, 0
	v_add_co_u32_e32 v35, vcc, v12, v35
	v_addc_co_u32_e32 v36, vcc, v13, v36, vcc
	v_mov_b32_e32 v56, v71
	v_mov_b32_e32 v14, v73
	global_store_dwordx2 v[35:36], v[69:70], off
	v_lshlrev_b64 v[35:36], 3, v[55:56]
	v_mad_u64_u32 v[55:56], s[0:1], s3, v37, v[14:15]
	v_add_u32_e32 v37, 0x654, v62
	v_add_co_u32_e32 v35, vcc, v12, v35
	v_mov_b32_e32 v73, v55
	v_mad_u64_u32 v[55:56], s[0:1], s2, v37, 0
	v_addc_co_u32_e32 v36, vcc, v13, v36, vcc
	v_mov_b32_e32 v14, v56
	global_store_dwordx2 v[35:36], v[67:68], off
	v_mad_u64_u32 v[67:68], s[0:1], s3, v37, v[14:15]
	v_add_u32_e32 v37, 0x870, v62
	v_mad_u64_u32 v[68:69], s[0:1], s2, v37, 0
	v_lshlrev_b64 v[35:36], 3, v[72:73]
	v_sub_f32_e32 v20, v60, v74
	v_add_co_u32_e32 v35, vcc, v12, v35
	v_sub_f32_e32 v19, v59, v42
	v_add_f32_e32 v60, v60, v74
	v_add_f32_e32 v59, v59, v42
	v_addc_co_u32_e32 v36, vcc, v13, v36, vcc
	v_mov_b32_e32 v56, v67
	v_mov_b32_e32 v14, v69
	global_store_dwordx2 v[35:36], v[59:60], off
	v_lshlrev_b64 v[35:36], 3, v[55:56]
	v_mad_u64_u32 v[55:56], s[0:1], s3, v37, v[14:15]
	v_add_co_u32_e32 v35, vcc, v12, v35
	v_addc_co_u32_e32 v36, vcc, v13, v36, vcc
	v_add_u32_e32 v37, 0xa8c, v62
	global_store_dwordx2 v[35:36], v[53:54], off
	v_mov_b32_e32 v69, v55
	v_mad_u64_u32 v[53:54], s[0:1], s2, v37, 0
	v_lshlrev_b64 v[35:36], 3, v[68:69]
	v_add_u32_e32 v42, 0x4a4, v62
	v_add_co_u32_e32 v35, vcc, v12, v35
	v_addc_co_u32_e32 v36, vcc, v13, v36, vcc
	v_mov_b32_e32 v14, v54
	global_store_dwordx2 v[35:36], v[21:22], off
	v_mad_u64_u32 v[21:22], s[0:1], s3, v37, v[14:15]
	v_add_u32_e32 v37, 0x6c, v62
	v_mad_u64_u32 v[35:36], s[0:1], s2, v37, 0
	v_mov_b32_e32 v54, v21
	v_lshlrev_b64 v[21:22], 3, v[53:54]
	v_mov_b32_e32 v14, v36
	v_mad_u64_u32 v[36:37], s[4:5], s3, v37, v[14:15]
	v_add_co_u32_e32 v21, vcc, v12, v21
	v_addc_co_u32_e32 v22, vcc, v13, v22, vcc
	global_store_dwordx2 v[21:22], v[19:20], off
	v_lshlrev_b64 v[19:20], 3, v[35:36]
	v_add_u32_e32 v35, 0x288, v62
	v_mad_u64_u32 v[21:22], s[4:5], s2, v35, 0
	v_add_co_u32_e32 v19, vcc, v12, v19
	v_mov_b32_e32 v14, v22
	v_mad_u64_u32 v[35:36], s[4:5], s3, v35, v[14:15]
	v_mad_u64_u32 v[36:37], s[4:5], s2, v42, 0
	v_addc_co_u32_e32 v20, vcc, v13, v20, vcc
	v_mov_b32_e32 v22, v35
	v_mov_b32_e32 v14, v37
	global_store_dwordx2 v[19:20], v[65:66], off
	v_lshlrev_b64 v[19:20], 3, v[21:22]
	v_mad_u64_u32 v[21:22], s[4:5], s3, v42, v[14:15]
	v_add_u32_e32 v35, 0x6c0, v62
	v_add_co_u32_e32 v19, vcc, v12, v19
	v_mov_b32_e32 v37, v21
	v_mad_u64_u32 v[21:22], s[4:5], s2, v35, 0
	v_addc_co_u32_e32 v20, vcc, v13, v20, vcc
	v_mov_b32_e32 v14, v22
	global_store_dwordx2 v[19:20], v[63:64], off
	v_lshlrev_b64 v[19:20], 3, v[36:37]
	v_mad_u64_u32 v[35:36], s[4:5], s3, v35, v[14:15]
	v_add_u32_e32 v42, 0x8dc, v62
	v_mad_u64_u32 v[36:37], s[4:5], s2, v42, 0
	v_add_co_u32_e32 v19, vcc, v12, v19
	v_addc_co_u32_e32 v20, vcc, v13, v20, vcc
	v_mov_b32_e32 v22, v35
	global_store_dwordx2 v[19:20], v[57:58], off
	v_lshlrev_b64 v[19:20], 3, v[21:22]
	v_mov_b32_e32 v14, v37
	v_mad_u64_u32 v[21:22], s[4:5], s3, v42, v[14:15]
	v_add_co_u32_e32 v19, vcc, v12, v19
	v_addc_co_u32_e32 v20, vcc, v13, v20, vcc
	global_store_dwordx2 v[19:20], v[31:32], off
	v_add_u32_e32 v31, 0xaf8, v62
	v_mov_b32_e32 v37, v21
	v_mad_u64_u32 v[21:22], s[4:5], s2, v31, 0
	v_lshlrev_b64 v[19:20], 3, v[36:37]
	v_add_f32_e32 v47, v94, v95
	v_mov_b32_e32 v14, v22
	v_mad_u64_u32 v[31:32], s[4:5], s3, v31, v[14:15]
	v_add_u32_e32 v32, 0xd8, v62
	v_mad_u64_u32 v[35:36], s[4:5], s2, v32, 0
	v_add_co_u32_e32 v19, vcc, v12, v19
	v_addc_co_u32_e32 v20, vcc, v13, v20, vcc
	v_mov_b32_e32 v22, v31
	global_store_dwordx2 v[19:20], v[29:30], off
	v_lshlrev_b64 v[19:20], 3, v[21:22]
	v_mov_b32_e32 v14, v36
	v_mad_u64_u32 v[21:22], s[4:5], s3, v32, v[14:15]
	v_add_co_u32_e32 v19, vcc, v12, v19
	v_addc_co_u32_e32 v20, vcc, v13, v20, vcc
	global_store_dwordx2 v[19:20], v[27:28], off
	v_add_u32_e32 v27, 0x2f4, v62
	v_mov_b32_e32 v36, v21
	v_mad_u64_u32 v[21:22], s[4:5], s2, v27, 0
	v_add_u32_e32 v30, 0x510, v62
	v_lshlrev_b64 v[19:20], 3, v[35:36]
	v_mov_b32_e32 v14, v22
	v_mad_u64_u32 v[27:28], s[4:5], s3, v27, v[14:15]
	v_mad_u64_u32 v[28:29], s[4:5], s2, v30, 0
	v_add_co_u32_e32 v19, vcc, v12, v19
	v_addc_co_u32_e32 v20, vcc, v13, v20, vcc
	v_mov_b32_e32 v22, v27
	v_mov_b32_e32 v14, v29
	global_store_dwordx2 v[19:20], v[51:52], off
	v_lshlrev_b64 v[19:20], 3, v[21:22]
	v_mad_u64_u32 v[21:22], s[4:5], s3, v30, v[14:15]
	v_add_u32_e32 v27, 0x72c, v62
	v_add_co_u32_e32 v19, vcc, v12, v19
	v_mov_b32_e32 v29, v21
	v_mad_u64_u32 v[21:22], s[4:5], s2, v27, 0
	v_addc_co_u32_e32 v20, vcc, v13, v20, vcc
	v_mov_b32_e32 v14, v22
	global_store_dwordx2 v[19:20], v[49:50], off
	v_lshlrev_b64 v[19:20], 3, v[28:29]
	v_mad_u64_u32 v[27:28], s[4:5], s3, v27, v[14:15]
	v_add_u32_e32 v30, 0x948, v62
	v_mad_u64_u32 v[28:29], s[4:5], s2, v30, 0
	v_add_co_u32_e32 v19, vcc, v12, v19
	v_addc_co_u32_e32 v20, vcc, v13, v20, vcc
	v_mov_b32_e32 v22, v27
	v_mov_b32_e32 v14, v29
	global_store_dwordx2 v[19:20], v[47:48], off
	v_lshlrev_b64 v[19:20], 3, v[21:22]
	v_mad_u64_u32 v[21:22], s[4:5], s3, v30, v[14:15]
	v_add_u32_e32 v27, 0xb64, v62
	v_add_co_u32_e32 v19, vcc, v12, v19
	v_mov_b32_e32 v29, v21
	v_mad_u64_u32 v[21:22], s[4:5], s2, v27, 0
	v_addc_co_u32_e32 v20, vcc, v13, v20, vcc
	v_mov_b32_e32 v14, v22
	global_store_dwordx2 v[19:20], v[45:46], off
	v_lshlrev_b64 v[19:20], 3, v[28:29]
	v_mad_u64_u32 v[27:28], s[4:5], s3, v27, v[14:15]
	v_add_u32_e32 v30, 0x144, v62
	v_mad_u64_u32 v[28:29], s[4:5], s2, v30, 0
	v_add_co_u32_e32 v19, vcc, v12, v19
	v_addc_co_u32_e32 v20, vcc, v13, v20, vcc
	v_mov_b32_e32 v22, v27
	v_mov_b32_e32 v14, v29
	global_store_dwordx2 v[19:20], v[43:44], off
	v_lshlrev_b64 v[19:20], 3, v[21:22]
	v_mad_u64_u32 v[21:22], s[4:5], s3, v30, v[14:15]
	v_add_co_u32_e32 v19, vcc, v12, v19
	v_addc_co_u32_e32 v20, vcc, v13, v20, vcc
	v_mov_b32_e32 v29, v21
	v_add_u32_e32 v21, 0x360, v62
	global_store_dwordx2 v[19:20], v[15:16], off
	v_mad_u64_u32 v[19:20], s[4:5], s2, v21, 0
	v_add_u32_e32 v27, 0x57c, v62
	v_lshlrev_b64 v[14:15], 3, v[28:29]
	v_mov_b32_e32 v16, v20
	v_mad_u64_u32 v[20:21], s[4:5], s3, v21, v[16:17]
	v_mad_u64_u32 v[21:22], s[4:5], s2, v27, 0
	v_add_co_u32_e32 v14, vcc, v12, v14
	v_addc_co_u32_e32 v15, vcc, v13, v15, vcc
	v_mov_b32_e32 v16, v22
	global_store_dwordx2 v[14:15], v[40:41], off
	v_lshlrev_b64 v[14:15], 3, v[19:20]
	v_mad_u64_u32 v[19:20], s[4:5], s3, v27, v[16:17]
	v_add_co_u32_e32 v14, vcc, v12, v14
	v_addc_co_u32_e32 v15, vcc, v13, v15, vcc
	v_mov_b32_e32 v22, v19
	global_store_dwordx2 v[14:15], v[38:39], off
	v_lshlrev_b64 v[14:15], 3, v[21:22]
	v_add_u32_e32 v21, 0x798, v62
	v_mad_u64_u32 v[19:20], s[4:5], s2, v21, 0
	v_add_u32_e32 v27, 0x9b4, v62
	v_add_co_u32_e32 v14, vcc, v12, v14
	v_mov_b32_e32 v16, v20
	v_mad_u64_u32 v[20:21], s[4:5], s3, v21, v[16:17]
	v_mad_u64_u32 v[21:22], s[4:5], s2, v27, 0
	v_addc_co_u32_e32 v15, vcc, v13, v15, vcc
	v_mov_b32_e32 v16, v22
	global_store_dwordx2 v[14:15], v[33:34], off
	v_lshlrev_b64 v[14:15], 3, v[19:20]
	v_mad_u64_u32 v[19:20], s[4:5], s3, v27, v[16:17]
	v_add_co_u32_e32 v14, vcc, v12, v14
	v_addc_co_u32_e32 v15, vcc, v13, v15, vcc
	v_mov_b32_e32 v22, v19
	global_store_dwordx2 v[14:15], v[25:26], off
	v_lshlrev_b64 v[14:15], 3, v[21:22]
	v_add_u32_e32 v21, 0xbd0, v62
	v_mad_u64_u32 v[19:20], s[4:5], s2, v21, 0
	s_mov_b32 s1, 0xf2b9d649
	v_add_co_u32_e32 v14, vcc, v12, v14
	v_mov_b32_e32 v16, v20
	v_mad_u64_u32 v[20:21], s[4:5], s3, v21, v[16:17]
	v_add_u32_e32 v16, 0x1b0, v62
	v_mul_hi_u32 v21, v16, s1
	v_addc_co_u32_e32 v15, vcc, v13, v15, vcc
	s_movk_i32 s0, 0xa8c
	global_store_dwordx2 v[14:15], v[23:24], off
	v_lshlrev_b64 v[14:15], 3, v[19:20]
	v_lshrrev_b32_e32 v19, 9, v21
	v_mad_u32_u24 v23, v19, s0, v16
	v_mad_u64_u32 v[19:20], s[0:1], s2, v23, 0
	v_add_u32_e32 v24, 0x21c, v23
	v_add_co_u32_e32 v14, vcc, v12, v14
	v_mov_b32_e32 v16, v20
	v_mad_u64_u32 v[20:21], s[0:1], s3, v23, v[16:17]
	v_mad_u64_u32 v[21:22], s[0:1], s2, v24, 0
	v_addc_co_u32_e32 v15, vcc, v13, v15, vcc
	v_mov_b32_e32 v16, v22
	global_store_dwordx2 v[14:15], v[17:18], off
	v_mad_u64_u32 v[16:17], s[0:1], s3, v24, v[16:17]
	v_lshlrev_b64 v[14:15], 3, v[19:20]
	v_add_u32_e32 v18, 0x654, v23
	v_add_co_u32_e32 v14, vcc, v12, v14
	v_addc_co_u32_e32 v15, vcc, v13, v15, vcc
	v_mov_b32_e32 v22, v16
	v_add_u32_e32 v16, 0x438, v23
	global_store_dwordx2 v[14:15], v[10:11], off
	v_mad_u64_u32 v[14:15], s[0:1], s2, v16, 0
	v_lshlrev_b64 v[10:11], 3, v[21:22]
	v_mad_u64_u32 v[15:16], s[0:1], s3, v16, v[15:16]
	v_mad_u64_u32 v[16:17], s[0:1], s2, v18, 0
	v_add_co_u32_e32 v10, vcc, v12, v10
	v_addc_co_u32_e32 v11, vcc, v13, v11, vcc
	global_store_dwordx2 v[10:11], v[8:9], off
	v_mov_b32_e32 v10, v17
	v_mad_u64_u32 v[10:11], s[0:1], s3, v18, v[10:11]
	v_lshlrev_b64 v[8:9], 3, v[14:15]
	v_add_u32_e32 v14, 0xa8c, v23
	v_add_co_u32_e32 v8, vcc, v12, v8
	v_addc_co_u32_e32 v9, vcc, v13, v9, vcc
	v_mov_b32_e32 v17, v10
	v_add_u32_e32 v10, 0x870, v23
	global_store_dwordx2 v[8:9], v[6:7], off
	v_mad_u64_u32 v[8:9], s[0:1], s2, v10, 0
	v_lshlrev_b64 v[6:7], 3, v[16:17]
	v_mad_u64_u32 v[9:10], s[0:1], s3, v10, v[9:10]
	v_mad_u64_u32 v[10:11], s[0:1], s2, v14, 0
	v_add_co_u32_e32 v6, vcc, v12, v6
	v_addc_co_u32_e32 v7, vcc, v13, v7, vcc
	global_store_dwordx2 v[6:7], v[4:5], off
	v_mov_b32_e32 v6, v11
	v_mad_u64_u32 v[6:7], s[0:1], s3, v14, v[6:7]
	v_lshlrev_b64 v[4:5], 3, v[8:9]
	v_add_co_u32_e32 v4, vcc, v12, v4
	v_addc_co_u32_e32 v5, vcc, v13, v5, vcc
	v_mov_b32_e32 v11, v6
	global_store_dwordx2 v[4:5], v[2:3], off
	v_lshlrev_b64 v[2:3], 3, v[10:11]
	v_add_co_u32_e32 v2, vcc, v12, v2
	v_addc_co_u32_e32 v3, vcc, v13, v3, vcc
	global_store_dwordx2 v[2:3], v[0:1], off
.LBB0_15:
	s_endpgm
	.section	.rodata,"a",@progbits
	.p2align	6, 0x0
	.amdhsa_kernel fft_rtc_fwd_len3240_factors_3_3_10_6_6_wgs_108_tpt_108_halfLds_sp_ip_CI_sbrr_dirReg
		.amdhsa_group_segment_fixed_size 0
		.amdhsa_private_segment_fixed_size 0
		.amdhsa_kernarg_size 88
		.amdhsa_user_sgpr_count 6
		.amdhsa_user_sgpr_private_segment_buffer 1
		.amdhsa_user_sgpr_dispatch_ptr 0
		.amdhsa_user_sgpr_queue_ptr 0
		.amdhsa_user_sgpr_kernarg_segment_ptr 1
		.amdhsa_user_sgpr_dispatch_id 0
		.amdhsa_user_sgpr_flat_scratch_init 0
		.amdhsa_user_sgpr_private_segment_size 0
		.amdhsa_uses_dynamic_stack 0
		.amdhsa_system_sgpr_private_segment_wavefront_offset 0
		.amdhsa_system_sgpr_workgroup_id_x 1
		.amdhsa_system_sgpr_workgroup_id_y 0
		.amdhsa_system_sgpr_workgroup_id_z 0
		.amdhsa_system_sgpr_workgroup_info 0
		.amdhsa_system_vgpr_workitem_id 0
		.amdhsa_next_free_vgpr 135
		.amdhsa_next_free_sgpr 24
		.amdhsa_reserve_vcc 1
		.amdhsa_reserve_flat_scratch 0
		.amdhsa_float_round_mode_32 0
		.amdhsa_float_round_mode_16_64 0
		.amdhsa_float_denorm_mode_32 3
		.amdhsa_float_denorm_mode_16_64 3
		.amdhsa_dx10_clamp 1
		.amdhsa_ieee_mode 1
		.amdhsa_fp16_overflow 0
		.amdhsa_exception_fp_ieee_invalid_op 0
		.amdhsa_exception_fp_denorm_src 0
		.amdhsa_exception_fp_ieee_div_zero 0
		.amdhsa_exception_fp_ieee_overflow 0
		.amdhsa_exception_fp_ieee_underflow 0
		.amdhsa_exception_fp_ieee_inexact 0
		.amdhsa_exception_int_div_zero 0
	.end_amdhsa_kernel
	.text
.Lfunc_end0:
	.size	fft_rtc_fwd_len3240_factors_3_3_10_6_6_wgs_108_tpt_108_halfLds_sp_ip_CI_sbrr_dirReg, .Lfunc_end0-fft_rtc_fwd_len3240_factors_3_3_10_6_6_wgs_108_tpt_108_halfLds_sp_ip_CI_sbrr_dirReg
                                        ; -- End function
	.section	.AMDGPU.csdata,"",@progbits
; Kernel info:
; codeLenInByte = 18396
; NumSgprs: 28
; NumVgprs: 135
; ScratchSize: 0
; MemoryBound: 0
; FloatMode: 240
; IeeeMode: 1
; LDSByteSize: 0 bytes/workgroup (compile time only)
; SGPRBlocks: 3
; VGPRBlocks: 33
; NumSGPRsForWavesPerEU: 28
; NumVGPRsForWavesPerEU: 135
; Occupancy: 1
; WaveLimiterHint : 1
; COMPUTE_PGM_RSRC2:SCRATCH_EN: 0
; COMPUTE_PGM_RSRC2:USER_SGPR: 6
; COMPUTE_PGM_RSRC2:TRAP_HANDLER: 0
; COMPUTE_PGM_RSRC2:TGID_X_EN: 1
; COMPUTE_PGM_RSRC2:TGID_Y_EN: 0
; COMPUTE_PGM_RSRC2:TGID_Z_EN: 0
; COMPUTE_PGM_RSRC2:TIDIG_COMP_CNT: 0
	.type	__hip_cuid_6d9a5551c941fe69,@object ; @__hip_cuid_6d9a5551c941fe69
	.section	.bss,"aw",@nobits
	.globl	__hip_cuid_6d9a5551c941fe69
__hip_cuid_6d9a5551c941fe69:
	.byte	0                               ; 0x0
	.size	__hip_cuid_6d9a5551c941fe69, 1

	.ident	"AMD clang version 19.0.0git (https://github.com/RadeonOpenCompute/llvm-project roc-6.4.0 25133 c7fe45cf4b819c5991fe208aaa96edf142730f1d)"
	.section	".note.GNU-stack","",@progbits
	.addrsig
	.addrsig_sym __hip_cuid_6d9a5551c941fe69
	.amdgpu_metadata
---
amdhsa.kernels:
  - .args:
      - .actual_access:  read_only
        .address_space:  global
        .offset:         0
        .size:           8
        .value_kind:     global_buffer
      - .offset:         8
        .size:           8
        .value_kind:     by_value
      - .actual_access:  read_only
        .address_space:  global
        .offset:         16
        .size:           8
        .value_kind:     global_buffer
      - .actual_access:  read_only
        .address_space:  global
        .offset:         24
        .size:           8
        .value_kind:     global_buffer
      - .offset:         32
        .size:           8
        .value_kind:     by_value
      - .actual_access:  read_only
        .address_space:  global
        .offset:         40
        .size:           8
        .value_kind:     global_buffer
      - .actual_access:  read_only
        .address_space:  global
        .offset:         48
        .size:           8
        .value_kind:     global_buffer
      - .offset:         56
        .size:           4
        .value_kind:     by_value
      - .actual_access:  read_only
        .address_space:  global
        .offset:         64
        .size:           8
        .value_kind:     global_buffer
      - .actual_access:  read_only
        .address_space:  global
        .offset:         72
        .size:           8
        .value_kind:     global_buffer
      - .address_space:  global
        .offset:         80
        .size:           8
        .value_kind:     global_buffer
    .group_segment_fixed_size: 0
    .kernarg_segment_align: 8
    .kernarg_segment_size: 88
    .language:       OpenCL C
    .language_version:
      - 2
      - 0
    .max_flat_workgroup_size: 108
    .name:           fft_rtc_fwd_len3240_factors_3_3_10_6_6_wgs_108_tpt_108_halfLds_sp_ip_CI_sbrr_dirReg
    .private_segment_fixed_size: 0
    .sgpr_count:     28
    .sgpr_spill_count: 0
    .symbol:         fft_rtc_fwd_len3240_factors_3_3_10_6_6_wgs_108_tpt_108_halfLds_sp_ip_CI_sbrr_dirReg.kd
    .uniform_work_group_size: 1
    .uses_dynamic_stack: false
    .vgpr_count:     135
    .vgpr_spill_count: 0
    .wavefront_size: 64
amdhsa.target:   amdgcn-amd-amdhsa--gfx906
amdhsa.version:
  - 1
  - 2
...

	.end_amdgpu_metadata
